;; amdgpu-corpus repo=ROCm/rocFFT kind=compiled arch=gfx906 opt=O3
	.text
	.amdgcn_target "amdgcn-amd-amdhsa--gfx906"
	.amdhsa_code_object_version 6
	.protected	fft_rtc_back_len1360_factors_17_5_16_wgs_255_tpt_85_halfLds_half_ip_CI_unitstride_sbrr_C2R_dirReg ; -- Begin function fft_rtc_back_len1360_factors_17_5_16_wgs_255_tpt_85_halfLds_half_ip_CI_unitstride_sbrr_C2R_dirReg
	.globl	fft_rtc_back_len1360_factors_17_5_16_wgs_255_tpt_85_halfLds_half_ip_CI_unitstride_sbrr_C2R_dirReg
	.p2align	8
	.type	fft_rtc_back_len1360_factors_17_5_16_wgs_255_tpt_85_halfLds_half_ip_CI_unitstride_sbrr_C2R_dirReg,@function
fft_rtc_back_len1360_factors_17_5_16_wgs_255_tpt_85_halfLds_half_ip_CI_unitstride_sbrr_C2R_dirReg: ; @fft_rtc_back_len1360_factors_17_5_16_wgs_255_tpt_85_halfLds_half_ip_CI_unitstride_sbrr_C2R_dirReg
; %bb.0:
	s_load_dwordx2 s[2:3], s[4:5], 0x50
	s_load_dwordx4 s[8:11], s[4:5], 0x0
	s_load_dwordx2 s[12:13], s[4:5], 0x18
	v_mul_u32_u24_e32 v1, 0x304, v0
	v_lshrrev_b32_e32 v1, 16, v1
	v_mad_u64_u32 v[1:2], s[0:1], s6, 3, v[1:2]
	v_mov_b32_e32 v5, 0
	s_waitcnt lgkmcnt(0)
	v_cmp_lt_u64_e64 s[0:1], s[10:11], 2
	v_mov_b32_e32 v2, v5
	v_mov_b32_e32 v3, 0
	;; [unrolled: 1-line block ×3, first 2 shown]
	s_and_b64 vcc, exec, s[0:1]
	v_mov_b32_e32 v4, 0
	v_mov_b32_e32 v9, v1
	s_cbranch_vccnz .LBB0_8
; %bb.1:
	s_load_dwordx2 s[0:1], s[4:5], 0x10
	s_add_u32 s6, s12, 8
	s_addc_u32 s7, s13, 0
	v_mov_b32_e32 v3, 0
	v_mov_b32_e32 v8, v2
	s_waitcnt lgkmcnt(0)
	s_add_u32 s16, s0, 8
	s_mov_b64 s[14:15], 1
	v_mov_b32_e32 v4, 0
	s_addc_u32 s17, s1, 0
	v_mov_b32_e32 v7, v1
.LBB0_2:                                ; =>This Inner Loop Header: Depth=1
	s_load_dwordx2 s[18:19], s[16:17], 0x0
                                        ; implicit-def: $vgpr9_vgpr10
	s_waitcnt lgkmcnt(0)
	v_or_b32_e32 v6, s19, v8
	v_cmp_ne_u64_e32 vcc, 0, v[5:6]
	s_and_saveexec_b64 s[0:1], vcc
	s_xor_b64 s[20:21], exec, s[0:1]
	s_cbranch_execz .LBB0_4
; %bb.3:                                ;   in Loop: Header=BB0_2 Depth=1
	v_cvt_f32_u32_e32 v2, s18
	v_cvt_f32_u32_e32 v6, s19
	s_sub_u32 s0, 0, s18
	s_subb_u32 s1, 0, s19
	v_mac_f32_e32 v2, 0x4f800000, v6
	v_rcp_f32_e32 v2, v2
	v_mul_f32_e32 v2, 0x5f7ffffc, v2
	v_mul_f32_e32 v6, 0x2f800000, v2
	v_trunc_f32_e32 v6, v6
	v_mac_f32_e32 v2, 0xcf800000, v6
	v_cvt_u32_f32_e32 v6, v6
	v_cvt_u32_f32_e32 v2, v2
	v_mul_lo_u32 v9, s0, v6
	v_mul_hi_u32 v10, s0, v2
	v_mul_lo_u32 v12, s1, v2
	v_mul_lo_u32 v11, s0, v2
	v_add_u32_e32 v9, v10, v9
	v_add_u32_e32 v9, v9, v12
	v_mul_hi_u32 v10, v2, v11
	v_mul_lo_u32 v12, v2, v9
	v_mul_hi_u32 v14, v2, v9
	v_mul_hi_u32 v13, v6, v11
	v_mul_lo_u32 v11, v6, v11
	v_mul_hi_u32 v15, v6, v9
	v_add_co_u32_e32 v10, vcc, v10, v12
	v_addc_co_u32_e32 v12, vcc, 0, v14, vcc
	v_mul_lo_u32 v9, v6, v9
	v_add_co_u32_e32 v10, vcc, v10, v11
	v_addc_co_u32_e32 v10, vcc, v12, v13, vcc
	v_addc_co_u32_e32 v11, vcc, 0, v15, vcc
	v_add_co_u32_e32 v9, vcc, v10, v9
	v_addc_co_u32_e32 v10, vcc, 0, v11, vcc
	v_add_co_u32_e32 v2, vcc, v2, v9
	v_addc_co_u32_e32 v6, vcc, v6, v10, vcc
	v_mul_lo_u32 v9, s0, v6
	v_mul_hi_u32 v10, s0, v2
	v_mul_lo_u32 v11, s1, v2
	v_mul_lo_u32 v12, s0, v2
	v_add_u32_e32 v9, v10, v9
	v_add_u32_e32 v9, v9, v11
	v_mul_lo_u32 v13, v2, v9
	v_mul_hi_u32 v14, v2, v12
	v_mul_hi_u32 v15, v2, v9
	;; [unrolled: 1-line block ×3, first 2 shown]
	v_mul_lo_u32 v12, v6, v12
	v_mul_hi_u32 v10, v6, v9
	v_add_co_u32_e32 v13, vcc, v14, v13
	v_addc_co_u32_e32 v14, vcc, 0, v15, vcc
	v_mul_lo_u32 v9, v6, v9
	v_add_co_u32_e32 v12, vcc, v13, v12
	v_addc_co_u32_e32 v11, vcc, v14, v11, vcc
	v_addc_co_u32_e32 v10, vcc, 0, v10, vcc
	v_add_co_u32_e32 v9, vcc, v11, v9
	v_addc_co_u32_e32 v10, vcc, 0, v10, vcc
	v_add_co_u32_e32 v2, vcc, v2, v9
	v_addc_co_u32_e32 v6, vcc, v6, v10, vcc
	v_mad_u64_u32 v[9:10], s[0:1], v7, v6, 0
	v_mul_hi_u32 v11, v7, v2
	v_add_co_u32_e32 v13, vcc, v11, v9
	v_addc_co_u32_e32 v14, vcc, 0, v10, vcc
	v_mad_u64_u32 v[9:10], s[0:1], v8, v2, 0
	v_mad_u64_u32 v[11:12], s[0:1], v8, v6, 0
	v_add_co_u32_e32 v2, vcc, v13, v9
	v_addc_co_u32_e32 v2, vcc, v14, v10, vcc
	v_addc_co_u32_e32 v6, vcc, 0, v12, vcc
	v_add_co_u32_e32 v2, vcc, v2, v11
	v_addc_co_u32_e32 v6, vcc, 0, v6, vcc
	v_mul_lo_u32 v11, s19, v2
	v_mul_lo_u32 v12, s18, v6
	v_mad_u64_u32 v[9:10], s[0:1], s18, v2, 0
	v_add3_u32 v10, v10, v12, v11
	v_sub_u32_e32 v11, v8, v10
	v_mov_b32_e32 v12, s19
	v_sub_co_u32_e32 v9, vcc, v7, v9
	v_subb_co_u32_e64 v11, s[0:1], v11, v12, vcc
	v_subrev_co_u32_e64 v12, s[0:1], s18, v9
	v_subbrev_co_u32_e64 v11, s[0:1], 0, v11, s[0:1]
	v_cmp_le_u32_e64 s[0:1], s19, v11
	v_cndmask_b32_e64 v13, 0, -1, s[0:1]
	v_cmp_le_u32_e64 s[0:1], s18, v12
	v_cndmask_b32_e64 v12, 0, -1, s[0:1]
	v_cmp_eq_u32_e64 s[0:1], s19, v11
	v_cndmask_b32_e64 v11, v13, v12, s[0:1]
	v_add_co_u32_e64 v12, s[0:1], 2, v2
	v_addc_co_u32_e64 v13, s[0:1], 0, v6, s[0:1]
	v_add_co_u32_e64 v14, s[0:1], 1, v2
	v_addc_co_u32_e64 v15, s[0:1], 0, v6, s[0:1]
	v_subb_co_u32_e32 v10, vcc, v8, v10, vcc
	v_cmp_ne_u32_e64 s[0:1], 0, v11
	v_cmp_le_u32_e32 vcc, s19, v10
	v_cndmask_b32_e64 v11, v15, v13, s[0:1]
	v_cndmask_b32_e64 v13, 0, -1, vcc
	v_cmp_le_u32_e32 vcc, s18, v9
	v_cndmask_b32_e64 v9, 0, -1, vcc
	v_cmp_eq_u32_e32 vcc, s19, v10
	v_cndmask_b32_e32 v9, v13, v9, vcc
	v_cmp_ne_u32_e32 vcc, 0, v9
	v_cndmask_b32_e32 v10, v6, v11, vcc
	v_cndmask_b32_e64 v6, v14, v12, s[0:1]
	v_cndmask_b32_e32 v9, v2, v6, vcc
.LBB0_4:                                ;   in Loop: Header=BB0_2 Depth=1
	s_andn2_saveexec_b64 s[0:1], s[20:21]
	s_cbranch_execz .LBB0_6
; %bb.5:                                ;   in Loop: Header=BB0_2 Depth=1
	v_cvt_f32_u32_e32 v2, s18
	s_sub_i32 s20, 0, s18
	v_rcp_iflag_f32_e32 v2, v2
	v_mul_f32_e32 v2, 0x4f7ffffe, v2
	v_cvt_u32_f32_e32 v2, v2
	v_mul_lo_u32 v6, s20, v2
	v_mul_hi_u32 v6, v2, v6
	v_add_u32_e32 v2, v2, v6
	v_mul_hi_u32 v2, v7, v2
	v_mul_lo_u32 v6, v2, s18
	v_add_u32_e32 v9, 1, v2
	v_sub_u32_e32 v6, v7, v6
	v_subrev_u32_e32 v10, s18, v6
	v_cmp_le_u32_e32 vcc, s18, v6
	v_cndmask_b32_e32 v6, v6, v10, vcc
	v_cndmask_b32_e32 v2, v2, v9, vcc
	v_add_u32_e32 v9, 1, v2
	v_cmp_le_u32_e32 vcc, s18, v6
	v_cndmask_b32_e32 v9, v2, v9, vcc
	v_mov_b32_e32 v10, v5
.LBB0_6:                                ;   in Loop: Header=BB0_2 Depth=1
	s_or_b64 exec, exec, s[0:1]
	v_mul_lo_u32 v2, v10, s18
	v_mul_lo_u32 v6, v9, s19
	v_mad_u64_u32 v[11:12], s[0:1], v9, s18, 0
	s_load_dwordx2 s[0:1], s[6:7], 0x0
	s_add_u32 s14, s14, 1
	v_add3_u32 v2, v12, v6, v2
	v_sub_co_u32_e32 v6, vcc, v7, v11
	v_subb_co_u32_e32 v2, vcc, v8, v2, vcc
	s_waitcnt lgkmcnt(0)
	v_mul_lo_u32 v2, s0, v2
	v_mul_lo_u32 v7, s1, v6
	v_mad_u64_u32 v[3:4], s[0:1], s0, v6, v[3:4]
	s_addc_u32 s15, s15, 0
	s_add_u32 s6, s6, 8
	v_add3_u32 v4, v7, v4, v2
	v_mov_b32_e32 v6, s10
	v_mov_b32_e32 v7, s11
	s_addc_u32 s7, s7, 0
	v_cmp_ge_u64_e32 vcc, s[14:15], v[6:7]
	s_add_u32 s16, s16, 8
	s_addc_u32 s17, s17, 0
	s_cbranch_vccnz .LBB0_8
; %bb.7:                                ;   in Loop: Header=BB0_2 Depth=1
	v_mov_b32_e32 v7, v9
	v_mov_b32_e32 v8, v10
	s_branch .LBB0_2
.LBB0_8:
	s_lshl_b64 s[0:1], s[10:11], 3
	s_add_u32 s0, s12, s0
	s_addc_u32 s1, s13, s1
	s_load_dwordx2 s[0:1], s[0:1], 0x0
	s_mov_b32 s6, 0xaaaaaaab
	v_mul_hi_u32 v5, v1, s6
	s_waitcnt lgkmcnt(0)
	v_mul_lo_u32 v6, s0, v10
	v_mul_lo_u32 v7, s1, v9
	v_mad_u64_u32 v[2:3], s[0:1], s0, v9, v[3:4]
	s_load_dwordx2 s[0:1], s[4:5], 0x20
	s_mov_b32 s4, 0x3030304
	v_lshrrev_b32_e32 v4, 1, v5
	v_mul_hi_u32 v5, v0, s4
	v_lshl_add_u32 v4, v4, 1, v4
	v_add3_u32 v3, v7, v3, v6
	v_sub_u32_e32 v1, v1, v4
	v_mul_u32_u24_e32 v4, 0x551, v1
	s_waitcnt lgkmcnt(0)
	v_cmp_gt_u64_e64 s[0:1], s[0:1], v[9:10]
	v_mul_u32_u24_e32 v1, 0x55, v5
	v_lshlrev_b64 v[2:3], 2, v[2:3]
	v_sub_u32_e32 v0, v0, v1
	v_lshlrev_b32_e32 v22, 2, v4
	s_and_saveexec_b64 s[4:5], s[0:1]
	s_cbranch_execz .LBB0_12
; %bb.9:
	v_mov_b32_e32 v1, 0
	v_mov_b32_e32 v5, s3
	v_add_co_u32_e32 v6, vcc, s2, v2
	v_lshlrev_b64 v[7:8], 2, v[0:1]
	v_addc_co_u32_e32 v5, vcc, v5, v3, vcc
	v_add_co_u32_e32 v7, vcc, v6, v7
	v_addc_co_u32_e32 v8, vcc, v5, v8, vcc
	v_add_co_u32_e32 v9, vcc, 0x1000, v7
	global_load_dword v11, v[7:8], off offset:1700
	global_load_dword v12, v[7:8], off offset:2040
	;; [unrolled: 1-line block ×3, first 2 shown]
	global_load_dword v14, v[7:8], off
	global_load_dword v15, v[7:8], off offset:340
	global_load_dword v16, v[7:8], off offset:680
	;; [unrolled: 1-line block ×4, first 2 shown]
	v_addc_co_u32_e32 v10, vcc, 0, v8, vcc
	global_load_dword v19, v[7:8], off offset:2720
	global_load_dword v20, v[7:8], off offset:3060
	;; [unrolled: 1-line block ×8, first 2 shown]
	v_lshlrev_b32_e32 v1, 2, v0
	s_movk_i32 s6, 0x54
	v_add3_u32 v1, 0, v22, v1
	v_add_u32_e32 v7, 0x400, v1
	v_cmp_eq_u32_e32 vcc, s6, v0
	v_add_u32_e32 v8, 0x600, v1
	v_add_u32_e32 v9, 0x800, v1
	;; [unrolled: 1-line block ×5, first 2 shown]
	s_waitcnt vmcnt(9)
	ds_write2_b32 v7, v17, v11 offset0:84 offset1:169
	ds_write2_b32 v8, v12, v13 offset0:126 offset1:211
	ds_write2_b32 v1, v14, v15 offset1:85
	s_waitcnt vmcnt(8)
	ds_write2_b32 v1, v16, v18 offset0:170 offset1:255
	s_waitcnt vmcnt(6)
	ds_write2_b32 v9, v19, v20 offset0:168 offset1:253
	;; [unrolled: 2-line block ×5, first 2 shown]
	s_and_saveexec_b64 s[6:7], vcc
	s_cbranch_execz .LBB0_11
; %bb.10:
	v_add_co_u32_e32 v6, vcc, 0x1000, v6
	v_addc_co_u32_e32 v7, vcc, 0, v5, vcc
	global_load_dword v0, v[6:7], off offset:1344
	s_waitcnt vmcnt(0)
	ds_write_b32 v1, v0 offset:5104
	v_mov_b32_e32 v0, 0x54
.LBB0_11:
	s_or_b64 exec, exec, s[6:7]
.LBB0_12:
	s_or_b64 exec, exec, s[4:5]
	v_lshl_add_u32 v20, v4, 2, 0
	v_lshlrev_b32_e32 v6, 2, v0
	v_add_u32_e32 v21, v20, v6
	s_waitcnt lgkmcnt(0)
	s_barrier
	v_sub_u32_e32 v7, v20, v6
	ds_read_u16 v10, v21
	ds_read_u16 v11, v7 offset:5440
	s_add_u32 s6, s8, 0x14fc
	s_addc_u32 s7, s9, 0
	v_cmp_ne_u32_e32 vcc, 0, v0
                                        ; implicit-def: $vgpr4_vgpr5
	s_waitcnt lgkmcnt(0)
	v_add_f16_e32 v8, v11, v10
	v_sub_f16_e32 v9, v10, v11
	s_and_saveexec_b64 s[4:5], vcc
	s_xor_b64 s[4:5], exec, s[4:5]
	s_cbranch_execz .LBB0_14
; %bb.13:
	v_mov_b32_e32 v1, 0
	v_lshlrev_b64 v[4:5], 2, v[0:1]
	v_mov_b32_e32 v8, s7
	v_add_co_u32_e32 v4, vcc, s6, v4
	v_addc_co_u32_e32 v5, vcc, v8, v5, vcc
	global_load_dword v4, v[4:5], off
	ds_read_u16 v5, v7 offset:5442
	ds_read_u16 v8, v21 offset:2
	v_add_f16_e32 v9, v11, v10
	v_sub_f16_e32 v10, v10, v11
	s_waitcnt lgkmcnt(0)
	v_add_f16_e32 v11, v5, v8
	v_sub_f16_e32 v5, v8, v5
	s_waitcnt vmcnt(0)
	v_lshrrev_b32_e32 v8, 16, v4
	v_fma_f16 v12, v10, v8, v9
	v_fma_f16 v13, v11, v8, v5
	v_fma_f16 v14, -v10, v8, v9
	v_fma_f16 v5, v11, v8, -v5
	v_fma_f16 v8, -v4, v11, v12
	v_fma_f16 v9, v10, v4, v13
	v_fma_f16 v11, v4, v11, v14
	v_fma_f16 v4, v10, v4, v5
	v_pack_b32_f16 v4, v11, v4
	ds_write_b32 v7, v4 offset:5440
	v_mov_b32_e32 v5, v1
	v_mov_b32_e32 v4, v0
.LBB0_14:
	s_andn2_saveexec_b64 s[4:5], s[4:5]
	s_cbranch_execz .LBB0_16
; %bb.15:
	ds_read_b32 v1, v20 offset:2720
	s_mov_b32 s10, 0xc0004000
	v_mov_b32_e32 v4, 0
	v_mov_b32_e32 v5, 0
	s_waitcnt lgkmcnt(0)
	v_pk_mul_f16 v1, v1, s10
	ds_write_b32 v20, v1 offset:2720
.LBB0_16:
	s_or_b64 exec, exec, s[4:5]
	v_lshlrev_b64 v[4:5], 2, v[4:5]
	v_mov_b32_e32 v1, s7
	v_add_co_u32_e32 v4, vcc, s6, v4
	v_addc_co_u32_e32 v5, vcc, v1, v5, vcc
	global_load_dword v1, v[4:5], off offset:340
	global_load_dword v10, v[4:5], off offset:680
	;; [unrolled: 1-line block ×4, first 2 shown]
	s_mov_b32 s6, 0x5040100
	v_perm_b32 v8, v9, v8, s6
	ds_write_b32 v21, v8
	ds_read_b32 v8, v21 offset:340
	ds_read_b32 v9, v7 offset:5100
	global_load_dword v13, v[4:5], off offset:1700
	global_load_dword v14, v[4:5], off offset:2040
	;; [unrolled: 1-line block ×3, first 2 shown]
	s_mov_b32 s24, 0xb5c8
	s_movk_i32 s7, 0x3b76
	s_mov_b32 s27, 0xb964
	s_waitcnt lgkmcnt(0)
	v_add_f16_e32 v4, v8, v9
	v_add_f16_sdwa v5, v9, v8 dst_sel:DWORD dst_unused:UNUSED_PAD src0_sel:WORD_1 src1_sel:WORD_1
	v_sub_f16_e32 v16, v8, v9
	v_sub_f16_sdwa v8, v8, v9 dst_sel:DWORD dst_unused:UNUSED_PAD src0_sel:WORD_1 src1_sel:WORD_1
	s_movk_i32 s10, 0x39e9
	s_mov_b32 s26, 0xbb29
	s_movk_i32 s11, 0x3722
	s_mov_b32 s25, 0xbbf7
	;; [unrolled: 2-line block ×3, first 2 shown]
	s_mov_b32 s15, 0xb461
	s_mov_b32 s18, 0xb1e1
	;; [unrolled: 1-line block ×7, first 2 shown]
	s_movk_i32 s29, 0x3836
	s_movk_i32 s28, 0x3bb2
	;; [unrolled: 1-line block ×5, first 2 shown]
	v_cmp_gt_u32_e32 vcc, s4, v0
	s_waitcnt vmcnt(6)
	v_lshrrev_b32_e32 v9, 16, v1
	v_fma_f16 v17, v16, v9, v4
	v_fma_f16 v18, v5, v9, v8
	v_fma_f16 v4, -v16, v9, v4
	v_fma_f16 v8, v5, v9, -v8
	v_fma_f16 v9, -v1, v5, v17
	v_fma_f16 v17, v16, v1, v18
	v_fma_f16 v4, v1, v5, v4
	v_fma_f16 v1, v16, v1, v8
	v_pack_b32_f16 v5, v9, v17
	v_pack_b32_f16 v1, v4, v1
	ds_write_b32 v21, v5 offset:340
	ds_write_b32 v7, v1 offset:5100
	ds_read_b32 v1, v21 offset:680
	ds_read_b32 v4, v7 offset:4760
	s_waitcnt vmcnt(5)
	v_lshrrev_b32_e32 v5, 16, v10
	s_waitcnt lgkmcnt(0)
	v_add_f16_e32 v8, v1, v4
	v_add_f16_sdwa v9, v4, v1 dst_sel:DWORD dst_unused:UNUSED_PAD src0_sel:WORD_1 src1_sel:WORD_1
	v_sub_f16_e32 v16, v1, v4
	v_sub_f16_sdwa v1, v1, v4 dst_sel:DWORD dst_unused:UNUSED_PAD src0_sel:WORD_1 src1_sel:WORD_1
	v_fma_f16 v4, v16, v5, v8
	v_fma_f16 v17, v9, v5, v1
	v_fma_f16 v8, -v16, v5, v8
	v_fma_f16 v1, v9, v5, -v1
	v_fma_f16 v4, -v10, v9, v4
	v_fma_f16 v5, v16, v10, v17
	v_fma_f16 v8, v10, v9, v8
	v_fma_f16 v1, v16, v10, v1
	v_pack_b32_f16 v4, v4, v5
	v_pack_b32_f16 v1, v8, v1
	ds_write_b32 v21, v4 offset:680
	ds_write_b32 v7, v1 offset:4760
	ds_read_b32 v1, v21 offset:1020
	ds_read_b32 v4, v7 offset:4420
	s_waitcnt vmcnt(4)
	v_lshrrev_b32_e32 v5, 16, v11
	s_waitcnt lgkmcnt(0)
	v_add_f16_e32 v8, v1, v4
	v_add_f16_sdwa v9, v4, v1 dst_sel:DWORD dst_unused:UNUSED_PAD src0_sel:WORD_1 src1_sel:WORD_1
	v_sub_f16_e32 v10, v1, v4
	v_sub_f16_sdwa v1, v1, v4 dst_sel:DWORD dst_unused:UNUSED_PAD src0_sel:WORD_1 src1_sel:WORD_1
	;; [unrolled: 21-line block ×6, first 2 shown]
	v_fma_f16 v4, v10, v5, v8
	v_fma_f16 v11, v9, v5, v1
	v_fma_f16 v8, -v10, v5, v8
	v_fma_f16 v1, v9, v5, -v1
	v_fma_f16 v4, -v15, v9, v4
	v_fma_f16 v5, v10, v15, v11
	v_fma_f16 v8, v15, v9, v8
	;; [unrolled: 1-line block ×3, first 2 shown]
	v_pack_b32_f16 v4, v4, v5
	v_pack_b32_f16 v1, v8, v1
	ds_write_b32 v21, v4 offset:2380
	ds_write_b32 v7, v1 offset:3060
	v_add3_u32 v1, 0, v6, v22
	v_add_u32_e32 v4, 0x1200, v1
	s_waitcnt lgkmcnt(0)
	s_barrier
	s_barrier
	ds_read2_b32 v[6:7], v1 offset0:80 offset1:160
	ds_read2_b32 v[4:5], v4 offset0:48 offset1:128
	v_add_u32_e32 v27, 0x1000, v1
	v_add_u32_e32 v8, 0x200, v1
	ds_read2_b32 v[8:9], v8 offset0:112 offset1:192
	v_add_u32_e32 v28, 0xc00, v1
	s_waitcnt lgkmcnt(1)
	v_pk_add_f16 v30, v6, v5 neg_lo:[0,1] neg_hi:[0,1]
	v_pk_add_f16 v34, v5, v6
	v_pk_mul_f16 v10, v30, s24 op_sel_hi:[1,0]
	v_pk_fma_f16 v45, v34, s7, v10 op_sel:[0,0,1] op_sel_hi:[1,0,0] neg_lo:[0,0,1] neg_hi:[0,0,1]
	v_pk_fma_f16 v46, v34, s7, v10 op_sel:[0,0,1] op_sel_hi:[1,0,0]
	ds_read2_b32 v[10:11], v27 offset0:16 offset1:96
	v_pk_add_f16 v32, v7, v4 neg_lo:[0,1] neg_hi:[0,1]
	v_pk_add_f16 v35, v4, v7
	v_pk_mul_f16 v12, v32, s27 op_sel_hi:[1,0]
	v_pk_fma_f16 v49, v35, s10, v12 op_sel:[0,0,1] op_sel_hi:[1,0,0] neg_lo:[0,0,1] neg_hi:[0,0,1]
	s_waitcnt lgkmcnt(0)
	v_pk_add_f16 v33, v8, v11 neg_lo:[0,1] neg_hi:[0,1]
	v_pk_fma_f16 v50, v35, s10, v12 op_sel:[0,0,1] op_sel_hi:[1,0,0]
	v_pk_add_f16 v37, v11, v8
	v_pk_mul_f16 v12, v33, s26 op_sel_hi:[1,0]
	v_pk_fma_f16 v51, v37, s11, v12 op_sel:[0,0,1] op_sel_hi:[1,0,0] neg_lo:[0,0,1] neg_hi:[0,0,1]
	v_pk_fma_f16 v52, v37, s11, v12 op_sel:[0,0,1] op_sel_hi:[1,0,0]
	v_add_u32_e32 v29, 0x400, v1
	ds_read2_b32 v[12:13], v28 offset0:112 offset1:192
	ds_read2_b32 v[14:15], v29 offset0:144 offset1:224
	v_pk_add_f16 v36, v9, v10 neg_lo:[0,1] neg_hi:[0,1]
	v_pk_add_f16 v39, v10, v9
	v_pk_mul_f16 v16, v36, s25 op_sel_hi:[1,0]
	v_pk_fma_f16 v54, v39, s12, v16 op_sel:[0,0,1] op_sel_hi:[1,0,0] neg_lo:[0,0,1] neg_hi:[0,0,1]
	s_waitcnt lgkmcnt(0)
	v_pk_add_f16 v38, v14, v13 neg_lo:[0,1] neg_hi:[0,1]
	v_pk_fma_f16 v55, v39, s12, v16 op_sel:[0,0,1] op_sel_hi:[1,0,0]
	v_pk_add_f16 v41, v13, v14
	v_pk_mul_f16 v16, v38, s13 op_sel_hi:[1,0]
	v_pk_fma_f16 v56, v41, s15, v16 op_sel:[0,0,1] op_sel_hi:[1,0,0] neg_lo:[0,0,1] neg_hi:[0,0,1]
	v_pk_fma_f16 v57, v41, s15, v16 op_sel:[0,0,1] op_sel_hi:[1,0,0]
	v_add_u32_e32 v16, 0xa00, v1
	v_add_u32_e32 v31, 0x800, v1
	ds_read2_b32 v[16:17], v16 offset0:80 offset1:160
	ds_read2_b32 v[18:19], v31 offset0:48 offset1:128
	ds_read_b32 v44, v21
	v_pk_add_f16 v40, v15, v12 neg_lo:[0,1] neg_hi:[0,1]
	v_pk_add_f16 v43, v12, v15
	v_pk_mul_f16 v23, v40, s14 op_sel_hi:[1,0]
	s_waitcnt lgkmcnt(1)
	v_pk_add_f16 v48, v19, v16 neg_lo:[0,1] neg_hi:[0,1]
	v_pk_add_f16 v53, v16, v19
	v_pk_mul_f16 v24, v48, s18 op_sel_hi:[1,0]
	v_pk_fma_f16 v62, v53, s20, v24 op_sel:[0,0,1] op_sel_hi:[1,0,0] neg_lo:[0,0,1] neg_hi:[0,0,1]
	v_pk_fma_f16 v63, v53, s20, v24 op_sel:[0,0,1] op_sel_hi:[1,0,0]
	s_waitcnt lgkmcnt(0)
	v_add_f16_sdwa v24, v44, v46 dst_sel:DWORD dst_unused:UNUSED_PAD src0_sel:WORD_1 src1_sel:WORD_1
	v_add_f16_sdwa v24, v50, v24 dst_sel:DWORD dst_unused:UNUSED_PAD src0_sel:WORD_1 src1_sel:DWORD
	v_add_f16_sdwa v24, v52, v24 dst_sel:DWORD dst_unused:UNUSED_PAD src0_sel:WORD_1 src1_sel:DWORD
	v_pk_add_f16 v42, v18, v17 neg_lo:[0,1] neg_hi:[0,1]
	v_add_f16_sdwa v24, v55, v24 dst_sel:DWORD dst_unused:UNUSED_PAD src0_sel:WORD_1 src1_sel:DWORD
	v_pk_fma_f16 v58, v43, s16, v23 op_sel:[0,0,1] op_sel_hi:[1,0,0] neg_lo:[0,0,1] neg_hi:[0,0,1]
	v_pk_fma_f16 v59, v43, s16, v23 op_sel:[0,0,1] op_sel_hi:[1,0,0]
	v_pk_add_f16 v47, v17, v18
	v_pk_mul_f16 v23, v42, s17 op_sel_hi:[1,0]
	v_add_f16_sdwa v24, v57, v24 dst_sel:DWORD dst_unused:UNUSED_PAD src0_sel:WORD_1 src1_sel:DWORD
	v_pk_fma_f16 v61, v47, s19, v23 op_sel:[0,0,1] op_sel_hi:[1,0,0]
	v_add_f16_sdwa v24, v59, v24 dst_sel:DWORD dst_unused:UNUSED_PAD src0_sel:WORD_1 src1_sel:DWORD
	v_add_f16_sdwa v24, v61, v24 dst_sel:DWORD dst_unused:UNUSED_PAD src0_sel:WORD_1 src1_sel:DWORD
	;; [unrolled: 1-line block ×3, first 2 shown]
	v_pk_mul_f16 v24, v30, s27 op_sel_hi:[1,0]
	v_pk_fma_f16 v64, v34, s10, v24 op_sel:[0,0,1] op_sel_hi:[1,0,0] neg_lo:[0,0,1] neg_hi:[0,0,1]
	v_pk_fma_f16 v65, v34, s10, v24 op_sel:[0,0,1] op_sel_hi:[1,0,0]
	v_pk_mul_f16 v24, v32, s25 op_sel_hi:[1,0]
	v_pk_fma_f16 v66, v35, s12, v24 op_sel:[0,0,1] op_sel_hi:[1,0,0] neg_lo:[0,0,1] neg_hi:[0,0,1]
	v_pk_fma_f16 v67, v35, s12, v24 op_sel:[0,0,1] op_sel_hi:[1,0,0]
	;; [unrolled: 3-line block ×6, first 2 shown]
	v_pk_mul_f16 v24, v42, s21 op_sel_hi:[1,0]
	v_pk_mul_f16 v26, v48, s22 op_sel_hi:[1,0]
	v_pk_fma_f16 v60, v47, s19, v23 op_sel:[0,0,1] op_sel_hi:[1,0,0] neg_lo:[0,0,1] neg_hi:[0,0,1]
	v_add_f16_e32 v23, v44, v45
	v_pk_fma_f16 v76, v47, s11, v24 op_sel:[0,0,1] op_sel_hi:[1,0,0] neg_lo:[0,0,1] neg_hi:[0,0,1]
	v_pk_fma_f16 v77, v47, s11, v24 op_sel:[0,0,1] op_sel_hi:[1,0,0]
	v_add_f16_e32 v24, v44, v64
	v_pk_fma_f16 v78, v53, s7, v26 op_sel:[0,0,1] op_sel_hi:[1,0,0] neg_lo:[0,0,1] neg_hi:[0,0,1]
	v_pk_fma_f16 v79, v53, s7, v26 op_sel:[0,0,1] op_sel_hi:[1,0,0]
	v_add_f16_sdwa v26, v44, v65 dst_sel:DWORD dst_unused:UNUSED_PAD src0_sel:WORD_1 src1_sel:WORD_1
	v_add_f16_e32 v23, v49, v23
	v_add_f16_e32 v24, v66, v24
	v_add_f16_sdwa v26, v67, v26 dst_sel:DWORD dst_unused:UNUSED_PAD src0_sel:WORD_1 src1_sel:DWORD
	v_add_f16_e32 v23, v51, v23
	v_add_f16_e32 v24, v68, v24
	v_add_f16_sdwa v26, v69, v26 dst_sel:DWORD dst_unused:UNUSED_PAD src0_sel:WORD_1 src1_sel:DWORD
	;; [unrolled: 3-line block ×7, first 2 shown]
	s_barrier
	s_and_saveexec_b64 s[4:5], vcc
	s_cbranch_execz .LBB0_18
; %bb.17:
	v_mul_f16_e32 v80, 0xbb29, v30
	v_lshrrev_b32_e32 v81, 16, v34
	v_fma_f16 v82, v81, s11, v80
	v_mul_f16_e32 v83, 0xba62, v32
	v_lshrrev_b32_e32 v84, 16, v35
	v_add_f16_sdwa v82, v44, v82 dst_sel:DWORD dst_unused:UNUSED_PAD src0_sel:WORD_1 src1_sel:DWORD
	v_fma_f16 v85, v84, s16, v83
	v_add_f16_e32 v82, v85, v82
	v_mul_f16_e32 v85, 0x31e1, v33
	v_lshrrev_b32_e32 v86, 16, v37
	v_fma_f16 v87, v86, s20, v85
	v_add_f16_e32 v82, v87, v82
	v_mul_f16_e32 v87, 0x3bb2, v36
	v_lshrrev_b32_e32 v88, 16, v39
	;; [unrolled: 4-line block ×6, first 2 shown]
	v_fma_f16 v97, v96, s19, v95
	v_add_f16_e32 v82, v97, v82
	v_mul_f16_sdwa v97, v30, s26 dst_sel:DWORD dst_unused:UNUSED_PAD src0_sel:WORD_1 src1_sel:DWORD
	v_fma_f16 v98, v34, s11, -v97
	v_mul_f16_sdwa v99, v32, s14 dst_sel:DWORD dst_unused:UNUSED_PAD src0_sel:WORD_1 src1_sel:DWORD
	v_add_f16_e32 v98, v44, v98
	v_fma_f16 v100, v35, s16, -v99
	s_movk_i32 s23, 0x31e1
	v_add_f16_e32 v98, v100, v98
	v_mul_f16_sdwa v100, v33, s23 dst_sel:DWORD dst_unused:UNUSED_PAD src0_sel:WORD_1 src1_sel:DWORD
	v_fma_f16 v101, v37, s20, -v100
	v_add_f16_e32 v98, v101, v98
	v_mul_f16_sdwa v101, v36, s28 dst_sel:DWORD dst_unused:UNUSED_PAD src0_sel:WORD_1 src1_sel:DWORD
	v_fma_f16 v102, v39, s15, -v101
	s_movk_i32 s23, 0x3964
	v_add_f16_e32 v98, v102, v98
	v_mul_f16_sdwa v102, v38, s23 dst_sel:DWORD dst_unused:UNUSED_PAD src0_sel:WORD_1 src1_sel:DWORD
	v_fma_f16 v103, v41, s10, -v102
	v_add_f16_e32 v98, v103, v98
	v_mul_f16_sdwa v103, v40, s24 dst_sel:DWORD dst_unused:UNUSED_PAD src0_sel:WORD_1 src1_sel:DWORD
	v_fma_f16 v104, v43, s7, -v103
	;; [unrolled: 3-line block ×4, first 2 shown]
	v_add_f16_e32 v98, v106, v98
	v_mul_f16_e32 v106, 0xbbf7, v30
	v_fma_f16 v107, v81, s12, v106
	v_mul_f16_e32 v108, 0xb1e1, v32
	v_add_f16_sdwa v107, v44, v107 dst_sel:DWORD dst_unused:UNUSED_PAD src0_sel:WORD_1 src1_sel:DWORD
	v_fma_f16 v109, v84, s20, v108
	v_add_f16_e32 v107, v109, v107
	v_mul_f16_e32 v109, 0x3bb2, v33
	v_fma_f16 v110, v86, s15, v109
	v_add_f16_e32 v107, v110, v107
	v_mul_f16_e32 v110, 0x35c8, v36
	;; [unrolled: 3-line block ×6, first 2 shown]
	v_fma_f16 v115, v96, s10, v114
	v_add_f16_e32 v107, v115, v107
	v_mul_f16_sdwa v115, v30, s25 dst_sel:DWORD dst_unused:UNUSED_PAD src0_sel:WORD_1 src1_sel:DWORD
	v_fma_f16 v116, v34, s12, -v115
	v_mul_f16_sdwa v117, v32, s18 dst_sel:DWORD dst_unused:UNUSED_PAD src0_sel:WORD_1 src1_sel:DWORD
	v_add_f16_e32 v116, v44, v116
	v_fma_f16 v118, v35, s20, -v117
	v_add_f16_e32 v116, v118, v116
	v_mul_f16_sdwa v118, v33, s28 dst_sel:DWORD dst_unused:UNUSED_PAD src0_sel:WORD_1 src1_sel:DWORD
	v_fma_f16 v119, v37, s15, -v118
	v_add_f16_e32 v116, v119, v116
	v_mul_f16_sdwa v119, v36, s22 dst_sel:DWORD dst_unused:UNUSED_PAD src0_sel:WORD_1 src1_sel:DWORD
	v_fma_f16 v120, v39, s7, -v119
	v_add_f16_e32 v116, v120, v116
	v_mul_f16_sdwa v120, v38, s26 dst_sel:DWORD dst_unused:UNUSED_PAD src0_sel:WORD_1 src1_sel:DWORD
	v_fma_f16 v121, v41, s11, -v120
	v_add_f16_e32 v116, v121, v116
	v_mul_f16_sdwa v121, v40, s17 dst_sel:DWORD dst_unused:UNUSED_PAD src0_sel:WORD_1 src1_sel:DWORD
	v_fma_f16 v122, v43, s19, -v121
	s_movk_i32 s30, 0x3a62
	v_add_f16_e32 v116, v122, v116
	v_mul_f16_sdwa v122, v42, s30 dst_sel:DWORD dst_unused:UNUSED_PAD src0_sel:WORD_1 src1_sel:DWORD
	v_fma_f16 v123, v47, s16, -v122
	v_add_f16_e32 v116, v123, v116
	v_mul_f16_sdwa v123, v48, s23 dst_sel:DWORD dst_unused:UNUSED_PAD src0_sel:WORD_1 src1_sel:DWORD
	v_fma_f16 v124, v53, s10, -v123
	v_add_f16_e32 v116, v124, v116
	v_mul_f16_e32 v124, 0xbbb2, v30
	v_fma_f16 v125, v81, s15, v124
	v_mul_f16_e32 v126, 0x3836, v32
	v_add_f16_sdwa v125, v44, v125 dst_sel:DWORD dst_unused:UNUSED_PAD src0_sel:WORD_1 src1_sel:DWORD
	v_fma_f16 v127, v84, s19, v126
	v_add_f16_e32 v125, v127, v125
	v_mul_f16_e32 v127, 0x3964, v33
	v_fma_f16 v128, v86, s10, v127
	v_add_f16_e32 v125, v128, v125
	v_mul_f16_e32 v128, 0xbb29, v36
	;; [unrolled: 3-line block ×6, first 2 shown]
	v_fma_f16 v133, v96, s16, v132
	v_add_f16_e32 v125, v133, v125
	v_mul_f16_sdwa v133, v30, s13 dst_sel:DWORD dst_unused:UNUSED_PAD src0_sel:WORD_1 src1_sel:DWORD
	v_fma_f16 v134, v34, s15, -v133
	v_mul_f16_sdwa v135, v32, s29 dst_sel:DWORD dst_unused:UNUSED_PAD src0_sel:WORD_1 src1_sel:DWORD
	v_add_f16_e32 v134, v44, v134
	v_fma_f16 v136, v35, s19, -v135
	v_add_f16_e32 v134, v136, v134
	v_mul_f16_sdwa v136, v33, s23 dst_sel:DWORD dst_unused:UNUSED_PAD src0_sel:WORD_1 src1_sel:DWORD
	v_fma_f16 v137, v37, s10, -v136
	v_add_f16_e32 v134, v137, v134
	v_mul_f16_sdwa v137, v36, s26 dst_sel:DWORD dst_unused:UNUSED_PAD src0_sel:WORD_1 src1_sel:DWORD
	;; [unrolled: 3-line block ×3, first 2 shown]
	v_fma_f16 v139, v41, s20, -v138
	s_movk_i32 s26, 0x3bf7
	v_add_f16_e32 v134, v139, v134
	v_mul_f16_sdwa v139, v40, s26 dst_sel:DWORD dst_unused:UNUSED_PAD src0_sel:WORD_1 src1_sel:DWORD
	v_fma_f16 v140, v43, s12, -v139
	v_add_f16_e32 v134, v140, v134
	v_mul_f16_sdwa v140, v42, s24 dst_sel:DWORD dst_unused:UNUSED_PAD src0_sel:WORD_1 src1_sel:DWORD
	v_fma_f16 v141, v47, s7, -v140
	;; [unrolled: 3-line block ×3, first 2 shown]
	v_add_f16_e32 v134, v142, v134
	v_mul_f16_e32 v142, 0xba62, v30
	v_fma_f16 v143, v81, s16, v142
	v_mul_f16_e32 v144, 0x3bb2, v32
	v_add_f16_sdwa v143, v44, v143 dst_sel:DWORD dst_unused:UNUSED_PAD src0_sel:WORD_1 src1_sel:DWORD
	v_fma_f16 v145, v84, s15, v144
	v_add_f16_e32 v143, v145, v143
	v_mul_f16_e32 v145, 0xb5c8, v33
	v_fma_f16 v146, v86, s7, v145
	v_add_f16_e32 v143, v146, v143
	v_mul_f16_e32 v146, 0xb836, v36
	;; [unrolled: 3-line block ×6, first 2 shown]
	v_fma_f16 v151, v96, s11, v150
	v_add_f16_e32 v143, v151, v143
	v_mul_f16_sdwa v151, v30, s14 dst_sel:DWORD dst_unused:UNUSED_PAD src0_sel:WORD_1 src1_sel:DWORD
	v_fma_f16 v152, v34, s16, -v151
	v_mul_f16_sdwa v153, v32, s28 dst_sel:DWORD dst_unused:UNUSED_PAD src0_sel:WORD_1 src1_sel:DWORD
	v_add_f16_e32 v152, v44, v152
	v_fma_f16 v154, v35, s15, -v153
	v_add_f16_e32 v152, v154, v152
	v_mul_f16_sdwa v154, v33, s24 dst_sel:DWORD dst_unused:UNUSED_PAD src0_sel:WORD_1 src1_sel:DWORD
	v_fma_f16 v155, v37, s7, -v154
	v_add_f16_e32 v152, v155, v152
	v_mul_f16_sdwa v155, v36, s17 dst_sel:DWORD dst_unused:UNUSED_PAD src0_sel:WORD_1 src1_sel:DWORD
	;; [unrolled: 3-line block ×6, first 2 shown]
	v_fma_f16 v160, v53, s11, -v159
	v_add_f16_e32 v152, v160, v152
	v_mul_f16_e32 v160, 0xb836, v30
	v_fma_f16 v161, v81, s19, v160
	v_mul_f16_e32 v162, 0x3b29, v32
	v_add_f16_sdwa v161, v44, v161 dst_sel:DWORD dst_unused:UNUSED_PAD src0_sel:WORD_1 src1_sel:DWORD
	v_fma_f16 v163, v84, s11, v162
	v_add_f16_e32 v161, v163, v161
	v_mul_f16_e32 v163, 0xbbf7, v33
	v_fma_f16 v164, v86, s12, v163
	v_add_f16_e32 v161, v164, v161
	v_mul_f16_e32 v164, 0x3a62, v36
	;; [unrolled: 3-line block ×4, first 2 shown]
	v_pk_add_f16 v6, v44, v6
	v_fma_f16 v167, v92, s20, v166
	v_pk_add_f16 v6, v6, v7
	v_add_f16_e32 v161, v167, v161
	v_mul_f16_e32 v167, 0x3964, v42
	v_pk_add_f16 v6, v6, v8
	v_fma_f16 v168, v94, s10, v167
	v_pk_add_f16 v6, v6, v9
	v_add_f16_e32 v161, v168, v161
	v_mul_f16_e32 v168, 0xbbb2, v48
	v_pk_add_f16 v6, v6, v14
	v_fma_f16 v169, v96, s15, v168
	v_pk_add_f16 v6, v6, v15
	v_add_f16_e32 v161, v169, v161
	v_mul_f16_sdwa v169, v30, s17 dst_sel:DWORD dst_unused:UNUSED_PAD src0_sel:WORD_1 src1_sel:DWORD
	v_pk_add_f16 v6, v6, v18
	v_fma_f16 v170, v34, s19, -v169
	v_mul_f16_sdwa v171, v32, s21 dst_sel:DWORD dst_unused:UNUSED_PAD src0_sel:WORD_1 src1_sel:DWORD
	v_pk_add_f16 v6, v6, v19
	v_add_f16_e32 v170, v44, v170
	v_fma_f16 v172, v35, s11, -v171
	v_pk_add_f16 v6, v6, v16
	v_add_f16_e32 v170, v172, v170
	v_mul_f16_sdwa v172, v33, s25 dst_sel:DWORD dst_unused:UNUSED_PAD src0_sel:WORD_1 src1_sel:DWORD
	v_pk_add_f16 v6, v6, v17
	v_fma_f16 v173, v37, s12, -v172
	v_pk_add_f16 v6, v6, v12
	v_add_f16_e32 v170, v173, v170
	v_mul_f16_sdwa v173, v36, s30 dst_sel:DWORD dst_unused:UNUSED_PAD src0_sel:WORD_1 src1_sel:DWORD
	v_pk_add_f16 v6, v6, v13
	v_fma_f16 v174, v39, s16, -v173
	v_pk_add_f16 v6, v6, v10
	v_add_f16_e32 v170, v174, v170
	v_mul_f16_sdwa v174, v38, s24 dst_sel:DWORD dst_unused:UNUSED_PAD src0_sel:WORD_1 src1_sel:DWORD
	v_fma_f16 v80, v81, s11, -v80
	s_mov_b32 s24, 0xffff
	v_pk_add_f16 v6, v6, v11
	v_fma_f16 v160, v81, s19, -v160
	v_fma_f16 v142, v81, s16, -v142
	;; [unrolled: 1-line block ×5, first 2 shown]
	v_add_f16_sdwa v80, v44, v80 dst_sel:DWORD dst_unused:UNUSED_PAD src0_sel:WORD_1 src1_sel:DWORD
	v_bfi_b32 v45, s24, v46, v45
	v_pk_add_f16 v4, v6, v4
	v_add_f16_sdwa v124, v44, v124 dst_sel:DWORD dst_unused:UNUSED_PAD src0_sel:WORD_1 src1_sel:DWORD
	v_fma_f16 v126, v84, s19, -v126
	v_add_f16_sdwa v106, v44, v106 dst_sel:DWORD dst_unused:UNUSED_PAD src0_sel:WORD_1 src1_sel:DWORD
	v_fma_f16 v108, v84, s20, -v108
	v_add_f16_e32 v80, v81, v80
	v_fma_f16 v81, v86, s20, -v85
	v_bfi_b32 v46, s24, v50, v49
	v_pk_add_f16 v4, v4, v5
	v_pk_add_f16 v5, v44, v45
	v_add_f16_sdwa v160, v44, v160 dst_sel:DWORD dst_unused:UNUSED_PAD src0_sel:WORD_1 src1_sel:DWORD
	v_fma_f16 v162, v84, s11, -v162
	v_add_f16_sdwa v142, v44, v142 dst_sel:DWORD dst_unused:UNUSED_PAD src0_sel:WORD_1 src1_sel:DWORD
	v_fma_f16 v144, v84, s15, -v144
	v_add_f16_e32 v124, v126, v124
	v_fma_f16 v126, v86, s10, -v127
	v_add_f16_e32 v106, v108, v106
	v_fma_f16 v108, v86, s15, -v109
	v_add_f16_e32 v80, v81, v80
	v_fma_f16 v81, v88, s15, -v87
	v_bfi_b32 v49, s24, v52, v51
	v_pk_add_f16 v5, v46, v5
	v_add_f16_e32 v160, v162, v160
	v_fma_f16 v162, v86, s12, -v163
	v_add_f16_e32 v142, v144, v142
	v_fma_f16 v144, v86, s7, -v145
	v_add_f16_e32 v124, v126, v124
	v_fma_f16 v126, v88, s11, -v128
	v_add_f16_e32 v106, v108, v106
	v_fma_f16 v108, v88, s7, -v110
	v_add_f16_e32 v80, v81, v80
	v_fma_f16 v81, v90, s10, -v89
	v_bfi_b32 v50, s24, v55, v54
	v_pk_add_f16 v5, v49, v5
	v_add_f16_e32 v160, v162, v160
	v_fma_f16 v162, v88, s16, -v164
	v_add_f16_e32 v142, v144, v142
	;; [unrolled: 12-line block ×5, first 2 shown]
	v_fma_f16 v144, v94, s20, -v149
	v_add_f16_e32 v124, v126, v124
	v_fma_f16 v126, v96, s16, -v132
	v_add_f16_e32 v106, v108, v106
	;; [unrolled: 2-line block ×3, first 2 shown]
	v_fma_f16 v81, v34, s11, v97
	v_bfi_b32 v55, s24, v63, v62
	v_mul_u32_u24_e32 v7, 0x44, v0
	v_pk_add_f16 v5, v54, v5
	v_add_f16_e32 v160, v162, v160
	v_fma_f16 v162, v96, s15, -v168
	v_add_f16_e32 v142, v144, v142
	v_fma_f16 v144, v96, s11, -v150
	v_add_f16_e32 v124, v126, v124
	v_fma_f16 v126, v34, s15, v133
	v_add_f16_e32 v106, v108, v106
	v_fma_f16 v108, v34, s12, v115
	v_add_f16_e32 v81, v44, v81
	v_fma_f16 v83, v35, s16, v99
	v_bfi_b32 v64, s24, v65, v64
	v_add3_u32 v7, 0, v7, v22
	v_pk_add_f16 v5, v55, v5
	v_add_f16_e32 v160, v162, v160
	v_fma_f16 v162, v34, s19, v169
	v_add_f16_e32 v142, v144, v142
	v_fma_f16 v144, v34, s16, v151
	v_add_f16_e32 v126, v44, v126
	v_fma_f16 v127, v35, s19, v135
	v_add_f16_e32 v108, v44, v108
	v_fma_f16 v109, v35, s20, v117
	v_add_f16_e32 v81, v83, v81
	v_fma_f16 v83, v37, s20, v100
	v_bfi_b32 v65, s24, v67, v66
	ds_write2_b32 v7, v4, v5 offset1:1
	v_pk_add_f16 v4, v44, v64
	v_fma_f16 v175, v41, s7, -v174
	v_add_f16_e32 v162, v44, v162
	v_fma_f16 v163, v35, s11, v171
	v_add_f16_e32 v144, v44, v144
	v_fma_f16 v145, v35, s15, v153
	;; [unrolled: 2-line block ×5, first 2 shown]
	v_bfi_b32 v66, s24, v69, v68
	v_pk_add_f16 v4, v65, v4
	v_add_f16_e32 v170, v175, v170
	v_mul_f16_sdwa v175, v40, s18 dst_sel:DWORD dst_unused:UNUSED_PAD src0_sel:WORD_1 src1_sel:DWORD
	v_add_f16_e32 v162, v163, v162
	v_fma_f16 v163, v37, s12, v172
	v_add_f16_e32 v144, v145, v144
	v_fma_f16 v145, v37, s7, v154
	;; [unrolled: 2-line block ×5, first 2 shown]
	v_bfi_b32 v67, s24, v71, v70
	v_pk_add_f16 v4, v66, v4
	v_fma_f16 v176, v43, s20, -v175
	v_add_f16_e32 v162, v163, v162
	v_fma_f16 v163, v39, s16, v173
	v_add_f16_e32 v144, v145, v144
	v_fma_f16 v145, v39, s19, v155
	;; [unrolled: 2-line block ×5, first 2 shown]
	v_bfi_b32 v68, s24, v73, v72
	v_pk_add_f16 v4, v67, v4
	v_add_f16_e32 v170, v176, v170
	v_mul_f16_sdwa v176, v42, s23 dst_sel:DWORD dst_unused:UNUSED_PAD src0_sel:WORD_1 src1_sel:DWORD
	v_add_f16_e32 v162, v163, v162
	v_fma_f16 v163, v41, s7, v174
	v_add_f16_e32 v144, v145, v144
	v_fma_f16 v145, v41, s12, v156
	;; [unrolled: 2-line block ×5, first 2 shown]
	v_bfi_b32 v69, s24, v75, v74
	v_pk_add_f16 v4, v68, v4
	v_fma_f16 v177, v47, s10, -v176
	v_add_f16_e32 v162, v163, v162
	v_fma_f16 v163, v43, s20, v175
	v_add_f16_e32 v144, v145, v144
	v_fma_f16 v145, v43, s10, v157
	;; [unrolled: 2-line block ×5, first 2 shown]
	v_bfi_b32 v70, s24, v77, v76
	v_pk_add_f16 v4, v69, v4
	v_add_f16_e32 v170, v177, v170
	v_mul_f16_sdwa v177, v48, s13 dst_sel:DWORD dst_unused:UNUSED_PAD src0_sel:WORD_1 src1_sel:DWORD
	v_add_f16_e32 v162, v163, v162
	v_fma_f16 v163, v47, s10, v176
	v_add_f16_e32 v144, v145, v144
	v_fma_f16 v145, v47, s20, v158
	;; [unrolled: 2-line block ×4, first 2 shown]
	v_add_f16_e32 v81, v83, v81
	v_bfi_b32 v71, s24, v79, v78
	v_pk_add_f16 v4, v70, v4
	v_add_f16_e32 v162, v163, v162
	v_fma_f16 v163, v53, s15, v177
	v_add_f16_e32 v144, v145, v144
	v_fma_f16 v145, v53, s11, v159
	v_add_f16_e32 v126, v127, v126
	v_add_f16_e32 v108, v109, v108
	v_pk_add_f16 v4, v71, v4
	v_pack_b32_f16 v5, v81, v80
	v_add_f16_e32 v162, v163, v162
	v_add_f16_e32 v144, v145, v144
	ds_write2_b32 v7, v4, v5 offset0:2 offset1:3
	v_pack_b32_f16 v4, v126, v124
	v_pack_b32_f16 v5, v108, v106
	ds_write2_b32 v7, v5, v4 offset0:4 offset1:5
	v_pack_b32_f16 v4, v162, v160
	v_pack_b32_f16 v5, v144, v142
	ds_write2_b32 v7, v5, v4 offset0:6 offset1:7
	v_pk_mul_f16 v4, v34, s20 op_sel_hi:[1,0]
	v_pk_fma_f16 v5, v30, s18, v4 op_sel:[0,0,1] op_sel_hi:[1,0,0]
	v_pk_mul_f16 v8, v35, s7 op_sel_hi:[1,0]
	v_pk_fma_f16 v4, v30, s18, v4 op_sel:[0,0,1] op_sel_hi:[1,0,0] neg_lo:[1,0,0] neg_hi:[1,0,0]
	v_pk_fma_f16 v9, v32, s22, v8 op_sel:[0,0,1] op_sel_hi:[1,0,0]
	v_pk_mul_f16 v10, v37, s19 op_sel_hi:[1,0]
	v_pk_add_f16 v4, v44, v4 op_sel:[1,0] op_sel_hi:[0,1]
	v_pk_fma_f16 v8, v32, s22, v8 op_sel:[0,0,1] op_sel_hi:[1,0,0] neg_lo:[1,0,0] neg_hi:[1,0,0]
	v_pk_mul_f16 v12, v39, s10 op_sel_hi:[1,0]
	v_pk_add_f16 v4, v8, v4
	v_pk_fma_f16 v8, v33, s17, v10 op_sel:[0,0,1] op_sel_hi:[1,0,0] neg_lo:[1,0,0] neg_hi:[1,0,0]
	v_pk_mul_f16 v14, v41, s16 op_sel_hi:[1,0]
	v_pk_add_f16 v4, v8, v4
	;; [unrolled: 3-line block ×4, first 2 shown]
	v_pk_fma_f16 v8, v40, s21, v16 op_sel:[0,0,1] op_sel_hi:[1,0,0] neg_lo:[1,0,0] neg_hi:[1,0,0]
	v_alignbit_b32 v6, s0, v44, 16
	v_pk_mul_f16 v34, v53, s12 op_sel_hi:[1,0]
	v_pk_add_f16 v4, v8, v4
	v_pk_fma_f16 v8, v42, s13, v18 op_sel:[0,0,1] op_sel_hi:[1,0,0] neg_lo:[1,0,0] neg_hi:[1,0,0]
	v_pk_add_f16 v6, v6, v5
	v_pk_add_f16 v4, v8, v4
	v_pk_fma_f16 v8, v48, s26, v34 op_sel:[0,0,1] op_sel_hi:[1,0,0] neg_lo:[1,0,0] neg_hi:[1,0,0]
	v_alignbit_b32 v5, s0, v5, 16
	v_pk_fma_f16 v11, v33, s17, v10 op_sel:[0,0,1] op_sel_hi:[1,0,0]
	v_pk_add_f16 v4, v8, v4
	v_pk_add_f16 v5, v44, v5
	v_alignbit_b32 v8, s0, v9, 16
	v_pk_add_f16 v6, v9, v6
	v_pk_fma_f16 v13, v36, s23, v12 op_sel:[0,0,1] op_sel_hi:[1,0,0]
	v_pk_add_f16 v5, v8, v5
	v_alignbit_b32 v8, s0, v11, 16
	v_pk_add_f16 v6, v11, v6
	v_pk_fma_f16 v15, v38, s14, v14 op_sel:[0,0,1] op_sel_hi:[1,0,0]
	;; [unrolled: 4-line block ×5, first 2 shown]
	v_pk_add_f16 v5, v8, v5
	v_alignbit_b32 v8, s0, v19, 16
	v_pk_add_f16 v6, v19, v6
	v_pk_add_f16 v5, v8, v5
	v_alignbit_b32 v8, s0, v35, 16
	v_fma_f16 v178, v53, s15, -v177
	v_pk_add_f16 v6, v35, v6
	v_pk_add_f16 v5, v8, v5
	v_add_f16_e32 v170, v178, v170
	v_alignbit_b32 v6, v6, v4, 16
	v_pack_b32_f16 v4, v5, v4
	ds_write2_b32 v7, v4, v6 offset0:8 offset1:9
	v_pack_b32_f16 v4, v152, v143
	v_pack_b32_f16 v5, v170, v161
	ds_write2_b32 v7, v5, v4 offset0:10 offset1:11
	v_pack_b32_f16 v4, v116, v107
	;; [unrolled: 3-line block ×3, first 2 shown]
	v_perm_b32 v5, v26, v24, s6
	ds_write2_b32 v7, v4, v5 offset0:14 offset1:15
	v_perm_b32 v4, v25, v23, s6
	ds_write_b32 v7, v4 offset:64
.LBB0_18:
	s_or_b64 exec, exec, s[4:5]
	v_add_u32_e32 v4, 0x600, v1
	s_waitcnt lgkmcnt(0)
	s_barrier
	ds_read_b32 v32, v21
	ds_read2_b32 v[10:11], v29 offset0:16 offset1:101
	ds_read2_b32 v[6:7], v4 offset0:58 offset1:160
	ds_read2_b32 v[12:13], v28 offset0:48 offset1:133
	v_add_u32_e32 v4, 0xe00, v1
	ds_read2_b32 v[8:9], v4 offset0:90 offset1:192
	ds_read2_b32 v[4:5], v1 offset0:85 offset1:170
	ds_read2_b32 v[16:17], v31 offset0:117 offset1:202
	ds_read2_b32 v[14:15], v27 offset0:149 offset1:234
	v_cmp_gt_u32_e32 vcc, 17, v0
                                        ; implicit-def: $vgpr30
                                        ; implicit-def: $vgpr27
                                        ; implicit-def: $vgpr28
                                        ; implicit-def: $vgpr19
                                        ; implicit-def: $vgpr29
                                        ; implicit-def: $vgpr18
	s_and_saveexec_b64 s[4:5], vcc
	s_cbranch_execz .LBB0_20
; %bb.19:
	ds_read_b32 v24, v1 offset:1020
	ds_read_b32 v23, v1 offset:2108
	;; [unrolled: 1-line block ×5, first 2 shown]
	s_waitcnt lgkmcnt(4)
	v_lshrrev_b32_e32 v26, 16, v24
	s_waitcnt lgkmcnt(3)
	v_lshrrev_b32_e32 v25, 16, v23
	;; [unrolled: 2-line block ×5, first 2 shown]
.LBB0_20:
	s_or_b64 exec, exec, s[4:5]
	s_movk_i32 s4, 0xf1
	v_mul_lo_u16_sdwa v31, v0, s4 dst_sel:DWORD dst_unused:UNUSED_PAD src0_sel:BYTE_0 src1_sel:DWORD
	v_add_u16_e32 v37, 0x55, v0
	v_add_u16_e32 v42, 0xaa, v0
	v_lshrrev_b16_e32 v31, 12, v31
	v_mul_lo_u16_sdwa v38, v37, s4 dst_sel:DWORD dst_unused:UNUSED_PAD src0_sel:BYTE_0 src1_sel:DWORD
	v_mul_lo_u16_sdwa v43, v42, s4 dst_sel:DWORD dst_unused:UNUSED_PAD src0_sel:BYTE_0 src1_sel:DWORD
	v_mul_lo_u16_e32 v33, 17, v31
	v_lshrrev_b16_e32 v46, 12, v38
	v_lshrrev_b16_e32 v48, 12, v43
	v_sub_u16_e32 v45, v0, v33
	v_mov_b32_e32 v41, 4
	v_mul_lo_u16_e32 v38, 17, v46
	v_mul_lo_u16_e32 v43, 17, v48
	v_lshlrev_b32_sdwa v33, v41, v45 dst_sel:DWORD dst_unused:UNUSED_PAD src0_sel:DWORD src1_sel:BYTE_0
	v_sub_u16_e32 v47, v37, v38
	v_sub_u16_e32 v49, v42, v43
	global_load_dwordx4 v[33:36], v33, s[8:9]
	v_lshlrev_b32_sdwa v37, v41, v47 dst_sel:DWORD dst_unused:UNUSED_PAD src0_sel:DWORD src1_sel:BYTE_0
	global_load_dwordx4 v[37:40], v37, s[8:9]
	v_lshlrev_b32_sdwa v41, v41, v49 dst_sel:DWORD dst_unused:UNUSED_PAD src0_sel:DWORD src1_sel:BYTE_0
	global_load_dwordx4 v[41:44], v41, s[8:9]
	s_waitcnt lgkmcnt(5)
	v_lshrrev_b32_e32 v59, 16, v7
	s_waitcnt lgkmcnt(4)
	v_lshrrev_b32_e32 v60, 16, v12
	v_lshrrev_b32_e32 v54, 16, v6
	;; [unrolled: 1-line block ×3, first 2 shown]
	s_waitcnt lgkmcnt(3)
	v_lshrrev_b32_e32 v61, 16, v9
	v_mov_b32_e32 v65, 2
	s_waitcnt lgkmcnt(1)
	v_lshrrev_b32_e32 v55, 16, v17
	v_lshlrev_b32_sdwa v45, v65, v45 dst_sel:DWORD dst_unused:UNUSED_PAD src0_sel:DWORD src1_sel:BYTE_0
	v_lshlrev_b32_sdwa v47, v65, v47 dst_sel:DWORD dst_unused:UNUSED_PAD src0_sel:DWORD src1_sel:BYTE_0
	;; [unrolled: 1-line block ×3, first 2 shown]
	v_lshrrev_b32_e32 v56, 16, v8
	s_waitcnt lgkmcnt(0)
	v_lshrrev_b32_e32 v57, 16, v15
	s_mov_b32 s10, 0xbb9c
	s_movk_i32 s12, 0x3b9c
	v_lshrrev_b32_e32 v52, 16, v14
	s_mov_b32 s7, 0xb8b4
	s_movk_i32 s11, 0x38b4
	s_movk_i32 s6, 0x34f2
	v_lshrrev_b32_e32 v50, 16, v32
	v_lshrrev_b32_e32 v63, 16, v16
	;; [unrolled: 1-line block ×6, first 2 shown]
	s_movk_i32 s4, 0x154
	s_waitcnt vmcnt(0)
	s_barrier
	v_mul_f16_sdwa v67, v34, v59 dst_sel:DWORD dst_unused:UNUSED_PAD src0_sel:WORD_1 src1_sel:DWORD
	v_mul_f16_sdwa v69, v35, v60 dst_sel:DWORD dst_unused:UNUSED_PAD src0_sel:WORD_1 src1_sel:DWORD
	;; [unrolled: 1-line block ×8, first 2 shown]
	v_mul_f16_sdwa v81, v54, v41 dst_sel:DWORD dst_unused:UNUSED_PAD src0_sel:DWORD src1_sel:WORD_1
	v_mul_f16_sdwa v82, v6, v41 dst_sel:DWORD dst_unused:UNUSED_PAD src0_sel:DWORD src1_sel:WORD_1
	v_fma_f16 v7, v34, v7, v67
	v_fma_f16 v12, v35, v12, v69
	v_mul_f16_sdwa v83, v55, v42 dst_sel:DWORD dst_unused:UNUSED_PAD src0_sel:DWORD src1_sel:WORD_1
	v_mul_f16_sdwa v84, v17, v42 dst_sel:DWORD dst_unused:UNUSED_PAD src0_sel:DWORD src1_sel:WORD_1
	v_fma_f16 v10, v33, v10, v65
	v_fma_f16 v33, v33, v58, -v66
	v_fma_f16 v9, v36, v9, v71
	v_fma_f16 v36, v36, v61, -v72
	;; [unrolled: 2-line block ×3, first 2 shown]
	v_add_f16_e32 v54, v7, v12
	v_mul_f16_sdwa v85, v56, v43 dst_sel:DWORD dst_unused:UNUSED_PAD src0_sel:DWORD src1_sel:WORD_1
	v_mul_f16_sdwa v86, v8, v43 dst_sel:DWORD dst_unused:UNUSED_PAD src0_sel:DWORD src1_sel:WORD_1
	;; [unrolled: 1-line block ×4, first 2 shown]
	v_fma_f16 v34, v34, v59, -v68
	v_fma_f16 v35, v35, v60, -v70
	v_fma_f16 v17, v17, v42, v83
	v_fma_f16 v42, v55, v42, -v84
	v_fma_f16 v54, v54, -0.5, v32
	v_sub_f16_e32 v55, v33, v36
	v_fma_f16 v8, v8, v43, v85
	v_fma_f16 v43, v56, v43, -v86
	v_fma_f16 v15, v15, v44, v87
	v_fma_f16 v44, v57, v44, -v88
	v_fma_f16 v56, v55, s10, v54
	v_sub_f16_e32 v57, v34, v35
	v_sub_f16_e32 v58, v10, v7
	v_sub_f16_e32 v59, v9, v12
	v_fma_f16 v54, v55, s12, v54
	v_mul_f16_sdwa v79, v52, v40 dst_sel:DWORD dst_unused:UNUSED_PAD src0_sel:DWORD src1_sel:WORD_1
	v_mul_f16_sdwa v80, v14, v40 dst_sel:DWORD dst_unused:UNUSED_PAD src0_sel:DWORD src1_sel:WORD_1
	v_fma_f16 v56, v57, s7, v56
	v_add_f16_e32 v58, v58, v59
	v_fma_f16 v54, v57, s11, v54
	v_fma_f16 v14, v14, v40, v79
	v_fma_f16 v40, v52, v40, -v80
	v_add_f16_e32 v52, v32, v10
	v_fma_f16 v56, v58, s6, v56
	v_fma_f16 v54, v58, s6, v54
	v_add_f16_e32 v58, v10, v9
	v_add_f16_e32 v52, v52, v7
	v_fma_f16 v32, v58, -0.5, v32
	v_add_f16_e32 v52, v52, v12
	v_fma_f16 v58, v57, s12, v32
	v_sub_f16_e32 v59, v7, v10
	v_sub_f16_e32 v60, v12, v9
	v_fma_f16 v32, v57, s10, v32
	v_add_f16_e32 v57, v34, v35
	v_add_f16_e32 v52, v52, v9
	v_fma_f16 v58, v55, s7, v58
	v_add_f16_e32 v59, v59, v60
	v_fma_f16 v32, v55, s11, v32
	v_fma_f16 v57, v57, -0.5, v50
	v_sub_f16_e32 v9, v10, v9
	v_fma_f16 v58, v59, s6, v58
	v_fma_f16 v32, v59, s6, v32
	;; [unrolled: 1-line block ×3, first 2 shown]
	v_sub_f16_e32 v7, v7, v12
	v_sub_f16_e32 v12, v33, v34
	;; [unrolled: 1-line block ×3, first 2 shown]
	v_fma_f16 v57, v9, s10, v57
	v_fma_f16 v10, v7, s11, v10
	v_add_f16_e32 v12, v12, v59
	v_fma_f16 v57, v7, s7, v57
	v_fma_f16 v10, v12, s6, v10
	;; [unrolled: 1-line block ×3, first 2 shown]
	v_add_f16_e32 v57, v33, v36
	v_add_f16_e32 v55, v50, v33
	v_fma_f16 v50, v57, -0.5, v50
	v_mul_f16_sdwa v75, v38, v63 dst_sel:DWORD dst_unused:UNUSED_PAD src0_sel:WORD_1 src1_sel:DWORD
	v_mul_f16_sdwa v77, v39, v64 dst_sel:DWORD dst_unused:UNUSED_PAD src0_sel:WORD_1 src1_sel:DWORD
	v_add_f16_e32 v55, v55, v34
	v_fma_f16 v57, v7, s10, v50
	v_sub_f16_e32 v33, v34, v33
	v_sub_f16_e32 v34, v35, v36
	v_fma_f16 v7, v7, s12, v50
	v_mul_f16_sdwa v73, v37, v62 dst_sel:DWORD dst_unused:UNUSED_PAD src0_sel:WORD_1 src1_sel:DWORD
	v_mul_f16_sdwa v74, v37, v11 dst_sel:DWORD dst_unused:UNUSED_PAD src0_sel:WORD_1 src1_sel:DWORD
	;; [unrolled: 1-line block ×4, first 2 shown]
	v_fma_f16 v16, v38, v16, v75
	v_fma_f16 v13, v39, v13, v77
	;; [unrolled: 1-line block ×3, first 2 shown]
	v_add_f16_e32 v33, v33, v34
	v_fma_f16 v7, v9, s7, v7
	v_fma_f16 v11, v37, v11, v73
	v_fma_f16 v37, v37, v62, -v74
	v_fma_f16 v34, v33, s6, v57
	v_fma_f16 v7, v33, s6, v7
	v_add_f16_e32 v33, v16, v13
	v_fma_f16 v38, v38, v63, -v76
	v_fma_f16 v39, v39, v64, -v78
	v_add_f16_e32 v55, v55, v35
	v_fma_f16 v33, v33, -0.5, v4
	v_sub_f16_e32 v35, v37, v40
	v_add_f16_e32 v55, v55, v36
	v_fma_f16 v36, v35, s10, v33
	v_sub_f16_e32 v50, v38, v39
	v_sub_f16_e32 v57, v11, v16
	;; [unrolled: 1-line block ×3, first 2 shown]
	v_fma_f16 v33, v35, s12, v33
	v_fma_f16 v36, v50, s7, v36
	v_add_f16_e32 v57, v57, v59
	v_fma_f16 v33, v50, s11, v33
	v_fma_f16 v36, v57, s6, v36
	;; [unrolled: 1-line block ×3, first 2 shown]
	v_add_f16_e32 v57, v11, v14
	v_add_f16_e32 v9, v4, v11
	v_fma_f16 v4, v57, -0.5, v4
	v_add_f16_e32 v9, v9, v16
	v_fma_f16 v57, v50, s12, v4
	v_sub_f16_e32 v59, v16, v11
	v_sub_f16_e32 v60, v13, v14
	v_fma_f16 v4, v50, s10, v4
	v_add_f16_e32 v50, v38, v39
	v_add_f16_e32 v9, v9, v13
	v_fma_f16 v57, v35, s7, v57
	v_add_f16_e32 v59, v59, v60
	v_fma_f16 v4, v35, s11, v4
	v_fma_f16 v50, v50, -0.5, v51
	v_sub_f16_e32 v11, v11, v14
	v_add_f16_e32 v9, v9, v14
	v_fma_f16 v57, v59, s6, v57
	v_fma_f16 v4, v59, s6, v4
	;; [unrolled: 1-line block ×3, first 2 shown]
	v_sub_f16_e32 v13, v16, v13
	v_sub_f16_e32 v16, v37, v38
	;; [unrolled: 1-line block ×3, first 2 shown]
	v_fma_f16 v50, v11, s10, v50
	v_fma_f16 v14, v13, s11, v14
	v_add_f16_e32 v16, v16, v59
	v_fma_f16 v50, v13, s7, v50
	v_fma_f16 v14, v16, s6, v14
	;; [unrolled: 1-line block ×3, first 2 shown]
	v_add_f16_e32 v50, v37, v40
	v_add_f16_e32 v35, v51, v37
	v_fma_f16 v50, v50, -0.5, v51
	v_add_f16_e32 v35, v35, v38
	v_fma_f16 v51, v13, s10, v50
	v_sub_f16_e32 v37, v38, v37
	v_sub_f16_e32 v38, v39, v40
	v_fma_f16 v13, v13, s12, v50
	v_fma_f16 v51, v11, s11, v51
	v_add_f16_e32 v37, v37, v38
	v_fma_f16 v11, v11, s7, v13
	v_fma_f16 v38, v37, s6, v51
	;; [unrolled: 1-line block ×3, first 2 shown]
	v_add_f16_e32 v37, v17, v8
	v_add_f16_e32 v35, v35, v39
	v_fma_f16 v37, v37, -0.5, v5
	v_sub_f16_e32 v39, v41, v44
	v_add_f16_e32 v35, v35, v40
	v_fma_f16 v40, v39, s10, v37
	v_sub_f16_e32 v50, v42, v43
	v_sub_f16_e32 v51, v6, v17
	;; [unrolled: 1-line block ×3, first 2 shown]
	v_fma_f16 v37, v39, s12, v37
	v_fma_f16 v40, v50, s7, v40
	v_add_f16_e32 v51, v51, v59
	v_fma_f16 v37, v50, s11, v37
	v_fma_f16 v40, v51, s6, v40
	;; [unrolled: 1-line block ×3, first 2 shown]
	v_add_f16_e32 v51, v6, v15
	v_add_f16_e32 v13, v5, v6
	v_fma_f16 v5, v51, -0.5, v5
	v_add_f16_e32 v13, v13, v17
	v_fma_f16 v51, v50, s12, v5
	v_sub_f16_e32 v59, v17, v6
	v_sub_f16_e32 v60, v8, v15
	v_fma_f16 v5, v50, s10, v5
	v_add_f16_e32 v50, v42, v43
	v_add_f16_e32 v13, v13, v8
	v_fma_f16 v51, v39, s7, v51
	v_add_f16_e32 v59, v59, v60
	v_fma_f16 v5, v39, s11, v5
	v_fma_f16 v50, v50, -0.5, v53
	v_sub_f16_e32 v6, v6, v15
	v_add_f16_e32 v13, v13, v15
	v_fma_f16 v51, v59, s6, v51
	v_fma_f16 v5, v59, s6, v5
	;; [unrolled: 1-line block ×3, first 2 shown]
	v_sub_f16_e32 v8, v17, v8
	v_sub_f16_e32 v17, v41, v42
	;; [unrolled: 1-line block ×3, first 2 shown]
	v_fma_f16 v50, v6, s10, v50
	v_fma_f16 v15, v8, s11, v15
	v_add_f16_e32 v17, v17, v59
	v_fma_f16 v50, v8, s7, v50
	v_fma_f16 v15, v17, s6, v15
	;; [unrolled: 1-line block ×3, first 2 shown]
	v_add_f16_e32 v50, v41, v44
	v_fma_f16 v50, v50, -0.5, v53
	v_add_f16_e32 v39, v53, v41
	v_fma_f16 v53, v8, s10, v50
	v_fma_f16 v8, v8, s12, v50
	v_fma_f16 v53, v6, s11, v53
	v_fma_f16 v6, v6, s7, v8
	v_mad_u32_u24 v8, v31, s4, 0
	v_add3_u32 v8, v8, v45, v22
	v_pack_b32_f16 v31, v52, v55
	v_pack_b32_f16 v10, v56, v10
	ds_write2_b32 v8, v31, v10 offset1:17
	v_pack_b32_f16 v10, v58, v34
	v_pack_b32_f16 v7, v32, v7
	ds_write2_b32 v8, v10, v7 offset0:34 offset1:51
	v_pack_b32_f16 v7, v54, v12
	ds_write_b32 v8, v7 offset:272
	v_mad_u32_u24 v7, v46, s4, 0
	v_add3_u32 v7, v7, v47, v22
	v_pack_b32_f16 v8, v9, v35
	v_pack_b32_f16 v9, v36, v14
	v_add_f16_e32 v39, v39, v42
	ds_write2_b32 v7, v8, v9 offset1:17
	v_pack_b32_f16 v8, v57, v38
	v_pack_b32_f16 v4, v4, v11
	v_add_f16_e32 v39, v39, v43
	v_sub_f16_e32 v41, v42, v41
	v_sub_f16_e32 v42, v43, v44
	ds_write2_b32 v7, v8, v4 offset0:34 offset1:51
	v_pack_b32_f16 v4, v33, v16
	v_add_f16_e32 v39, v39, v44
	v_add_f16_e32 v41, v41, v42
	ds_write_b32 v7, v4 offset:272
	v_mad_u32_u24 v4, v48, s4, 0
	v_fma_f16 v42, v41, s6, v53
	v_fma_f16 v6, v41, s6, v6
	v_add3_u32 v4, v4, v49, v22
	v_pack_b32_f16 v7, v13, v39
	v_pack_b32_f16 v8, v40, v15
	ds_write2_b32 v4, v7, v8 offset1:17
	v_pack_b32_f16 v7, v51, v42
	v_pack_b32_f16 v5, v5, v6
	ds_write2_b32 v4, v7, v5 offset0:34 offset1:51
	v_pack_b32_f16 v5, v37, v17
	ds_write_b32 v4, v5 offset:272
	s_and_saveexec_b64 s[4:5], vcc
	s_cbranch_execz .LBB0_22
; %bb.21:
	v_add_u32_e32 v4, 0xff, v0
	s_mov_b32 s13, 0xf0f1
	v_mul_u32_u24_sdwa v5, v4, s13 dst_sel:DWORD dst_unused:UNUSED_PAD src0_sel:WORD_0 src1_sel:DWORD
	v_lshrrev_b32_e32 v5, 20, v5
	v_mul_lo_u16_e32 v5, 17, v5
	v_sub_u16_e32 v8, v4, v5
	v_lshlrev_b32_e32 v4, 4, v8
	global_load_dwordx4 v[4:7], v4, s[8:9]
	v_lshlrev_b32_e32 v8, 2, v8
	v_add3_u32 v8, 0, v8, v22
	v_add_u32_e32 v9, 0x1200, v8
	v_add_u32_e32 v10, 0x1400, v8
	s_waitcnt vmcnt(0)
	v_mul_f16_sdwa v11, v27, v7 dst_sel:DWORD dst_unused:UNUSED_PAD src0_sel:DWORD src1_sel:WORD_1
	v_mul_f16_sdwa v12, v19, v6 dst_sel:DWORD dst_unused:UNUSED_PAD src0_sel:DWORD src1_sel:WORD_1
	;; [unrolled: 1-line block ×8, first 2 shown]
	v_fma_f16 v11, v30, v7, -v11
	v_fma_f16 v12, v28, v6, -v12
	;; [unrolled: 1-line block ×4, first 2 shown]
	v_fma_f16 v4, v23, v4, v15
	v_fma_f16 v5, v18, v5, v16
	;; [unrolled: 1-line block ×4, first 2 shown]
	v_add_f16_e32 v15, v26, v14
	v_add_f16_e32 v16, v24, v4
	v_sub_f16_e32 v17, v13, v14
	v_sub_f16_e32 v18, v12, v11
	v_add_f16_e32 v22, v14, v11
	v_sub_f16_e32 v25, v14, v13
	v_sub_f16_e32 v27, v11, v12
	v_add_f16_e32 v28, v13, v12
	v_add_f16_e32 v31, v4, v7
	;; [unrolled: 1-line block ×3, first 2 shown]
	v_sub_f16_e32 v19, v5, v6
	v_sub_f16_e32 v23, v4, v7
	v_sub_f16_e32 v29, v5, v4
	v_sub_f16_e32 v14, v14, v11
	v_sub_f16_e32 v32, v13, v12
	v_sub_f16_e32 v4, v4, v5
	v_add_f16_e32 v13, v15, v13
	v_add_f16_e32 v5, v16, v5
	;; [unrolled: 1-line block ×3, first 2 shown]
	v_fma_f16 v16, v22, -0.5, v26
	v_add_f16_e32 v17, v25, v27
	v_fma_f16 v18, v28, -0.5, v26
	v_fma_f16 v25, v31, -0.5, v24
	;; [unrolled: 1-line block ×3, first 2 shown]
	v_sub_f16_e32 v30, v6, v7
	v_sub_f16_e32 v33, v7, v6
	v_add_f16_e32 v12, v13, v12
	v_add_f16_e32 v5, v5, v6
	v_fma_f16 v6, v19, s12, v16
	v_fma_f16 v13, v19, s10, v16
	;; [unrolled: 1-line block ×7, first 2 shown]
	v_add_f16_e32 v22, v29, v30
	v_add_f16_e32 v4, v4, v33
	v_fma_f16 v25, v32, s12, v25
	v_add_f16_e32 v11, v12, v11
	v_add_f16_e32 v5, v5, v7
	v_fma_f16 v6, v23, s7, v6
	v_fma_f16 v7, v23, s11, v13
	v_fma_f16 v12, v19, s7, v16
	v_fma_f16 v13, v19, s11, v18
	v_fma_f16 v16, v14, s11, v26
	v_fma_f16 v18, v32, s11, v27
	v_fma_f16 v19, v32, s7, v24
	v_fma_f16 v14, v14, s7, v25
	v_fma_f16 v6, v15, s6, v6
	v_fma_f16 v7, v15, s6, v7
	v_fma_f16 v13, v17, s6, v13
	v_fma_f16 v15, v22, s6, v16
	v_fma_f16 v16, v4, s6, v18
	v_fma_f16 v4, v4, s6, v19
	v_fma_f16 v12, v17, s6, v12
	v_fma_f16 v14, v22, s6, v14
	v_pack_b32_f16 v5, v5, v11
	v_pack_b32_f16 v4, v4, v13
	;; [unrolled: 1-line block ×5, first 2 shown]
	ds_write2_b32 v9, v5, v4 offset0:123 offset1:140
	ds_write2_b32 v10, v7, v6 offset0:29 offset1:46
	ds_write_b32 v8, v11 offset:5372
.LBB0_22:
	s_or_b64 exec, exec, s[4:5]
	v_mul_u32_u24_e32 v4, 15, v0
	v_lshlrev_b32_e32 v19, 2, v4
	s_waitcnt lgkmcnt(0)
	s_barrier
	global_load_dwordx4 v[4:7], v19, s[8:9] offset:272
	global_load_dwordx4 v[8:11], v19, s[8:9] offset:288
	;; [unrolled: 1-line block ×3, first 2 shown]
	global_load_dwordx3 v[16:18], v19, s[8:9] offset:320
	ds_read2_b32 v[22:23], v1 offset0:85 offset1:170
	v_add_u32_e32 v30, 0xa00, v1
	v_add_u32_e32 v19, 0x200, v1
	;; [unrolled: 1-line block ×6, first 2 shown]
	ds_read_b32 v21, v21
	ds_read_b32 v40, v1 offset:5100
	ds_read2_b32 v[24:25], v19 offset0:127 offset1:212
	ds_read2_b32 v[26:27], v36 offset0:169 offset1:254
	ds_read2_b32 v[28:29], v37 offset0:83 offset1:168
	ds_read2_b32 v[30:31], v30 offset0:125 offset1:210
	ds_read2_b32 v[32:33], v38 offset0:167 offset1:252
	ds_read2_b32 v[34:35], v39 offset0:81 offset1:166
	s_waitcnt lgkmcnt(8)
	v_lshrrev_b32_e32 v41, 16, v22
	s_waitcnt lgkmcnt(6)
	v_lshrrev_b32_e32 v19, 16, v40
	v_lshrrev_b32_e32 v42, 16, v23
	s_waitcnt lgkmcnt(1)
	v_lshrrev_b32_e32 v51, 16, v33
	s_waitcnt lgkmcnt(0)
	v_lshrrev_b32_e32 v52, 16, v34
	v_lshrrev_b32_e32 v53, 16, v35
	;; [unrolled: 1-line block ×11, first 2 shown]
	s_mov_b32 s4, 0xb9a8
	s_movk_i32 s5, 0x39a8
	s_mov_b32 s6, 0xbb64
	s_movk_i32 s7, 0x361f
	;; [unrolled: 2-line block ×3, first 2 shown]
	s_waitcnt vmcnt(0)
	s_barrier
	v_mul_f16_sdwa v55, v4, v41 dst_sel:DWORD dst_unused:UNUSED_PAD src0_sel:WORD_1 src1_sel:DWORD
	v_mul_f16_sdwa v56, v4, v22 dst_sel:DWORD dst_unused:UNUSED_PAD src0_sel:WORD_1 src1_sel:DWORD
	v_mul_f16_sdwa v77, v51, v15 dst_sel:DWORD dst_unused:UNUSED_PAD src0_sel:DWORD src1_sel:WORD_1
	v_fma_f16 v22, v4, v22, v55
	v_fma_f16 v4, v4, v41, -v56
	v_fma_f16 v41, v33, v15, v77
	v_mul_f16_sdwa v33, v33, v15 dst_sel:DWORD dst_unused:UNUSED_PAD src0_sel:DWORD src1_sel:WORD_1
	v_fma_f16 v15, v51, v15, -v33
	v_mul_f16_sdwa v33, v52, v16 dst_sel:DWORD dst_unused:UNUSED_PAD src0_sel:DWORD src1_sel:WORD_1
	v_fma_f16 v33, v34, v16, v33
	v_mul_f16_sdwa v34, v34, v16 dst_sel:DWORD dst_unused:UNUSED_PAD src0_sel:DWORD src1_sel:WORD_1
	v_fma_f16 v16, v52, v16, -v34
	v_mul_f16_sdwa v34, v53, v17 dst_sel:DWORD dst_unused:UNUSED_PAD src0_sel:DWORD src1_sel:WORD_1
	;; [unrolled: 4-line block ×3, first 2 shown]
	v_mul_f16_sdwa v57, v5, v42 dst_sel:DWORD dst_unused:UNUSED_PAD src0_sel:WORD_1 src1_sel:DWORD
	v_mul_f16_sdwa v58, v5, v23 dst_sel:DWORD dst_unused:UNUSED_PAD src0_sel:WORD_1 src1_sel:DWORD
	v_mul_f16_sdwa v61, v43, v7 dst_sel:DWORD dst_unused:UNUSED_PAD src0_sel:DWORD src1_sel:WORD_1
	v_mul_f16_sdwa v62, v25, v7 dst_sel:DWORD dst_unused:UNUSED_PAD src0_sel:DWORD src1_sel:WORD_1
	;; [unrolled: 1-line block ×8, first 2 shown]
	v_fma_f16 v35, v40, v18, v35
	v_mul_f16_sdwa v40, v40, v18 dst_sel:DWORD dst_unused:UNUSED_PAD src0_sel:DWORD src1_sel:WORD_1
	v_fma_f16 v23, v5, v23, v57
	v_fma_f16 v5, v5, v42, -v58
	v_fma_f16 v25, v25, v7, v61
	v_fma_f16 v7, v43, v7, -v62
	;; [unrolled: 2-line block ×5, first 2 shown]
	v_fma_f16 v18, v19, v18, -v40
	v_lshrrev_b32_e32 v19, 16, v21
	v_mul_f16_sdwa v59, v6, v54 dst_sel:DWORD dst_unused:UNUSED_PAD src0_sel:WORD_1 src1_sel:DWORD
	v_mul_f16_sdwa v60, v6, v24 dst_sel:DWORD dst_unused:UNUSED_PAD src0_sel:WORD_1 src1_sel:DWORD
	v_mul_f16_sdwa v63, v44, v8 dst_sel:DWORD dst_unused:UNUSED_PAD src0_sel:DWORD src1_sel:WORD_1
	v_mul_f16_sdwa v64, v26, v8 dst_sel:DWORD dst_unused:UNUSED_PAD src0_sel:DWORD src1_sel:WORD_1
	;; [unrolled: 1-line block ×8, first 2 shown]
	v_sub_f16_e32 v29, v21, v29
	v_sub_f16_e32 v11, v19, v11
	;; [unrolled: 1-line block ×8, first 2 shown]
	v_fma_f16 v24, v6, v24, v59
	v_fma_f16 v6, v6, v54, -v60
	v_fma_f16 v26, v26, v8, v63
	v_fma_f16 v8, v44, v8, -v64
	v_fma_f16 v28, v28, v10, v67
	v_fma_f16 v10, v46, v10, -v68
	v_fma_f16 v30, v30, v12, v71
	v_fma_f16 v12, v48, v12, -v72
	v_fma_f16 v32, v32, v14, v75
	v_fma_f16 v14, v50, v14, -v76
	v_fma_f16 v25, v25, 2.0, -v40
	v_fma_f16 v7, v7, 2.0, -v15
	v_fma_f16 v27, v27, 2.0, -v34
	v_fma_f16 v9, v9, 2.0, -v17
	v_add_f16_e32 v15, v29, v15
	v_sub_f16_e32 v40, v11, v40
	v_add_f16_e32 v17, v31, v17
	v_sub_f16_e32 v34, v13, v34
	v_fma_f16 v21, v21, 2.0, -v29
	v_fma_f16 v19, v19, 2.0, -v11
	;; [unrolled: 1-line block ×4, first 2 shown]
	v_sub_f16_e32 v30, v22, v30
	v_sub_f16_e32 v12, v4, v12
	;; [unrolled: 1-line block ×8, first 2 shown]
	v_fma_f16 v29, v29, 2.0, -v15
	v_fma_f16 v11, v11, 2.0, -v40
	;; [unrolled: 1-line block ×8, first 2 shown]
	v_add_f16_e32 v16, v30, v16
	v_sub_f16_e32 v33, v12, v33
	v_add_f16_e32 v18, v32, v18
	v_sub_f16_e32 v35, v14, v35
	v_fma_f16 v41, v31, s4, v29
	v_fma_f16 v42, v13, s4, v11
	v_fma_f16 v22, v22, 2.0, -v30
	v_fma_f16 v4, v4, 2.0, -v12
	v_fma_f16 v24, v24, 2.0, -v32
	v_fma_f16 v6, v6, 2.0, -v14
	v_fma_f16 v30, v30, 2.0, -v16
	v_fma_f16 v12, v12, 2.0, -v33
	v_fma_f16 v32, v32, 2.0, -v18
	v_fma_f16 v14, v14, 2.0, -v35
	v_fma_f16 v13, v13, s5, v41
	v_fma_f16 v31, v31, s4, v42
	;; [unrolled: 1-line block ×8, first 2 shown]
	v_sub_f16_e32 v25, v21, v25
	v_sub_f16_e32 v7, v19, v7
	;; [unrolled: 1-line block ×8, first 2 shown]
	v_fma_f16 v14, v14, s5, v41
	v_fma_f16 v32, v32, s4, v42
	v_fma_f16 v23, v23, 2.0, -v27
	v_fma_f16 v5, v5, 2.0, -v9
	;; [unrolled: 1-line block ×6, first 2 shown]
	v_add_f16_e32 v9, v25, v9
	v_sub_f16_e32 v27, v7, v27
	v_fma_f16 v30, v30, 2.0, -v14
	v_fma_f16 v12, v12, 2.0, -v32
	v_add_f16_e32 v10, v26, v10
	v_sub_f16_e32 v28, v8, v28
	v_fma_f16 v41, v18, s5, v16
	v_fma_f16 v42, v35, s5, v33
	v_fma_f16 v21, v21, 2.0, -v25
	v_fma_f16 v19, v19, 2.0, -v7
	;; [unrolled: 1-line block ×8, first 2 shown]
	v_fma_f16 v35, v35, s5, v41
	v_fma_f16 v18, v18, s4, v42
	;; [unrolled: 1-line block ×4, first 2 shown]
	v_sub_f16_e32 v23, v21, v23
	v_sub_f16_e32 v5, v19, v5
	v_fma_f16 v15, v15, 2.0, -v34
	v_fma_f16 v40, v40, 2.0, -v17
	v_sub_f16_e32 v24, v22, v24
	v_sub_f16_e32 v6, v4, v6
	v_fma_f16 v16, v16, 2.0, -v35
	v_fma_f16 v33, v33, 2.0, -v18
	v_fma_f16 v12, v12, s7, v41
	v_fma_f16 v30, v30, s8, v42
	;; [unrolled: 1-line block ×4, first 2 shown]
	v_fma_f16 v21, v21, 2.0, -v23
	v_fma_f16 v19, v19, 2.0, -v5
	;; [unrolled: 1-line block ×4, first 2 shown]
	v_fma_f16 v8, v8, s5, v41
	v_fma_f16 v26, v26, s4, v42
	;; [unrolled: 1-line block ×4, first 2 shown]
	v_sub_f16_e32 v22, v21, v22
	v_sub_f16_e32 v4, v19, v4
	v_fma_f16 v33, v33, s9, v41
	v_fma_f16 v16, v16, s6, v42
	;; [unrolled: 1-line block ×4, first 2 shown]
	v_fma_f16 v21, v21, 2.0, -v22
	v_fma_f16 v19, v19, 2.0, -v4
	;; [unrolled: 1-line block ×4, first 2 shown]
	v_fma_f16 v32, v32, s9, v41
	v_fma_f16 v14, v14, s6, v42
	;; [unrolled: 1-line block ×4, first 2 shown]
	v_fma_f16 v25, v25, 2.0, -v8
	v_fma_f16 v7, v7, 2.0, -v26
	;; [unrolled: 1-line block ×4, first 2 shown]
	v_add_f16_e32 v6, v23, v6
	v_sub_f16_e32 v24, v5, v24
	v_fma_f16 v28, v28, s5, v41
	v_fma_f16 v10, v10, s4, v42
	v_fma_f16 v41, v35, s9, v34
	v_fma_f16 v42, v18, s9, v17
	v_pack_b32_f16 v19, v21, v19
	v_pack_b32_f16 v11, v29, v11
	v_fma_f16 v23, v23, 2.0, -v6
	v_fma_f16 v5, v5, 2.0, -v24
	;; [unrolled: 1-line block ×4, first 2 shown]
	v_fma_f16 v18, v18, s7, v41
	v_fma_f16 v35, v35, s8, v42
	ds_write2_b32 v1, v19, v11 offset1:85
	v_pack_b32_f16 v7, v25, v7
	v_pack_b32_f16 v11, v15, v40
	v_fma_f16 v9, v9, 2.0, -v28
	v_fma_f16 v27, v27, 2.0, -v10
	;; [unrolled: 1-line block ×4, first 2 shown]
	ds_write2_b32 v1, v7, v11 offset0:170 offset1:255
	v_pack_b32_f16 v5, v23, v5
	v_pack_b32_f16 v7, v13, v31
	ds_write2_b32 v36, v5, v7 offset0:84 offset1:169
	v_pack_b32_f16 v5, v9, v27
	v_pack_b32_f16 v7, v34, v17
	v_add_u32_e32 v9, 0x600, v1
	ds_write2_b32 v9, v5, v7 offset0:126 offset1:211
	v_pack_b32_f16 v4, v22, v4
	v_pack_b32_f16 v5, v12, v30
	ds_write2_b32 v37, v4, v5 offset0:168 offset1:253
	v_pack_b32_f16 v4, v8, v26
	v_pack_b32_f16 v5, v33, v16
	;; [unrolled: 3-line block ×3, first 2 shown]
	v_add_u32_e32 v1, 0xe00, v1
	ds_write2_b32 v1, v4, v5 offset0:124 offset1:209
	v_pack_b32_f16 v1, v28, v10
	v_pack_b32_f16 v4, v18, v35
	ds_write2_b32 v39, v1, v4 offset0:166 offset1:251
	s_waitcnt lgkmcnt(0)
	s_barrier
	s_and_saveexec_b64 s[4:5], s[0:1]
	s_cbranch_execz .LBB0_24
; %bb.23:
	v_lshl_add_u32 v6, v0, 2, v20
	v_mov_b32_e32 v1, 0
	ds_read2_b32 v[4:5], v6 offset1:85
	v_mov_b32_e32 v7, s3
	v_add_co_u32_e32 v8, vcc, s2, v2
	v_addc_co_u32_e32 v7, vcc, v7, v3, vcc
	v_lshlrev_b64 v[2:3], 2, v[0:1]
	v_add_co_u32_e32 v2, vcc, v8, v2
	v_addc_co_u32_e32 v3, vcc, v7, v3, vcc
	s_waitcnt lgkmcnt(0)
	global_store_dword v[2:3], v4, off
	v_add_u32_e32 v2, 0x55, v0
	v_mov_b32_e32 v3, v1
	v_lshlrev_b64 v[2:3], 2, v[2:3]
	v_add_co_u32_e32 v2, vcc, v8, v2
	v_addc_co_u32_e32 v3, vcc, v7, v3, vcc
	global_store_dword v[2:3], v5, off
	v_add_u32_e32 v2, 0xaa, v0
	v_mov_b32_e32 v3, v1
	ds_read2_b32 v[4:5], v6 offset0:170 offset1:255
	v_lshlrev_b64 v[2:3], 2, v[2:3]
	v_add_co_u32_e32 v2, vcc, v8, v2
	v_addc_co_u32_e32 v3, vcc, v7, v3, vcc
	s_waitcnt lgkmcnt(0)
	global_store_dword v[2:3], v4, off
	v_add_u32_e32 v2, 0xff, v0
	v_mov_b32_e32 v3, v1
	v_lshlrev_b64 v[2:3], 2, v[2:3]
	v_add_u32_e32 v4, 0x400, v6
	v_add_co_u32_e32 v2, vcc, v8, v2
	v_addc_co_u32_e32 v3, vcc, v7, v3, vcc
	global_store_dword v[2:3], v5, off
	v_add_u32_e32 v2, 0x154, v0
	v_mov_b32_e32 v3, v1
	ds_read2_b32 v[4:5], v4 offset0:84 offset1:169
	v_lshlrev_b64 v[2:3], 2, v[2:3]
	v_add_co_u32_e32 v2, vcc, v8, v2
	v_addc_co_u32_e32 v3, vcc, v7, v3, vcc
	s_waitcnt lgkmcnt(0)
	global_store_dword v[2:3], v4, off
	v_add_u32_e32 v2, 0x1a9, v0
	v_mov_b32_e32 v3, v1
	v_lshlrev_b64 v[2:3], 2, v[2:3]
	v_add_u32_e32 v4, 0x600, v6
	;; [unrolled: 15-line block ×6, first 2 shown]
	v_add_co_u32_e32 v2, vcc, v8, v2
	v_addc_co_u32_e32 v3, vcc, v7, v3, vcc
	global_store_dword v[2:3], v5, off
	v_add_u32_e32 v2, 0x4a6, v0
	v_mov_b32_e32 v3, v1
	v_lshlrev_b64 v[2:3], 2, v[2:3]
	ds_read2_b32 v[4:5], v4 offset0:166 offset1:251
	v_add_u32_e32 v0, 0x4fb, v0
	v_add_co_u32_e32 v2, vcc, v8, v2
	v_lshlrev_b64 v[0:1], 2, v[0:1]
	v_addc_co_u32_e32 v3, vcc, v7, v3, vcc
	v_add_co_u32_e32 v0, vcc, v8, v0
	v_addc_co_u32_e32 v1, vcc, v7, v1, vcc
	s_waitcnt lgkmcnt(0)
	global_store_dword v[2:3], v4, off
	global_store_dword v[0:1], v5, off
.LBB0_24:
	s_endpgm
	.section	.rodata,"a",@progbits
	.p2align	6, 0x0
	.amdhsa_kernel fft_rtc_back_len1360_factors_17_5_16_wgs_255_tpt_85_halfLds_half_ip_CI_unitstride_sbrr_C2R_dirReg
		.amdhsa_group_segment_fixed_size 0
		.amdhsa_private_segment_fixed_size 0
		.amdhsa_kernarg_size 88
		.amdhsa_user_sgpr_count 6
		.amdhsa_user_sgpr_private_segment_buffer 1
		.amdhsa_user_sgpr_dispatch_ptr 0
		.amdhsa_user_sgpr_queue_ptr 0
		.amdhsa_user_sgpr_kernarg_segment_ptr 1
		.amdhsa_user_sgpr_dispatch_id 0
		.amdhsa_user_sgpr_flat_scratch_init 0
		.amdhsa_user_sgpr_private_segment_size 0
		.amdhsa_uses_dynamic_stack 0
		.amdhsa_system_sgpr_private_segment_wavefront_offset 0
		.amdhsa_system_sgpr_workgroup_id_x 1
		.amdhsa_system_sgpr_workgroup_id_y 0
		.amdhsa_system_sgpr_workgroup_id_z 0
		.amdhsa_system_sgpr_workgroup_info 0
		.amdhsa_system_vgpr_workitem_id 0
		.amdhsa_next_free_vgpr 179
		.amdhsa_next_free_sgpr 31
		.amdhsa_reserve_vcc 1
		.amdhsa_reserve_flat_scratch 0
		.amdhsa_float_round_mode_32 0
		.amdhsa_float_round_mode_16_64 0
		.amdhsa_float_denorm_mode_32 3
		.amdhsa_float_denorm_mode_16_64 3
		.amdhsa_dx10_clamp 1
		.amdhsa_ieee_mode 1
		.amdhsa_fp16_overflow 0
		.amdhsa_exception_fp_ieee_invalid_op 0
		.amdhsa_exception_fp_denorm_src 0
		.amdhsa_exception_fp_ieee_div_zero 0
		.amdhsa_exception_fp_ieee_overflow 0
		.amdhsa_exception_fp_ieee_underflow 0
		.amdhsa_exception_fp_ieee_inexact 0
		.amdhsa_exception_int_div_zero 0
	.end_amdhsa_kernel
	.text
.Lfunc_end0:
	.size	fft_rtc_back_len1360_factors_17_5_16_wgs_255_tpt_85_halfLds_half_ip_CI_unitstride_sbrr_C2R_dirReg, .Lfunc_end0-fft_rtc_back_len1360_factors_17_5_16_wgs_255_tpt_85_halfLds_half_ip_CI_unitstride_sbrr_C2R_dirReg
                                        ; -- End function
	.section	.AMDGPU.csdata,"",@progbits
; Kernel info:
; codeLenInByte = 13184
; NumSgprs: 35
; NumVgprs: 179
; ScratchSize: 0
; MemoryBound: 0
; FloatMode: 240
; IeeeMode: 1
; LDSByteSize: 0 bytes/workgroup (compile time only)
; SGPRBlocks: 4
; VGPRBlocks: 44
; NumSGPRsForWavesPerEU: 35
; NumVGPRsForWavesPerEU: 179
; Occupancy: 1
; WaveLimiterHint : 1
; COMPUTE_PGM_RSRC2:SCRATCH_EN: 0
; COMPUTE_PGM_RSRC2:USER_SGPR: 6
; COMPUTE_PGM_RSRC2:TRAP_HANDLER: 0
; COMPUTE_PGM_RSRC2:TGID_X_EN: 1
; COMPUTE_PGM_RSRC2:TGID_Y_EN: 0
; COMPUTE_PGM_RSRC2:TGID_Z_EN: 0
; COMPUTE_PGM_RSRC2:TIDIG_COMP_CNT: 0
	.type	__hip_cuid_3c1cee808163d98e,@object ; @__hip_cuid_3c1cee808163d98e
	.section	.bss,"aw",@nobits
	.globl	__hip_cuid_3c1cee808163d98e
__hip_cuid_3c1cee808163d98e:
	.byte	0                               ; 0x0
	.size	__hip_cuid_3c1cee808163d98e, 1

	.ident	"AMD clang version 19.0.0git (https://github.com/RadeonOpenCompute/llvm-project roc-6.4.0 25133 c7fe45cf4b819c5991fe208aaa96edf142730f1d)"
	.section	".note.GNU-stack","",@progbits
	.addrsig
	.addrsig_sym __hip_cuid_3c1cee808163d98e
	.amdgpu_metadata
---
amdhsa.kernels:
  - .args:
      - .actual_access:  read_only
        .address_space:  global
        .offset:         0
        .size:           8
        .value_kind:     global_buffer
      - .offset:         8
        .size:           8
        .value_kind:     by_value
      - .actual_access:  read_only
        .address_space:  global
        .offset:         16
        .size:           8
        .value_kind:     global_buffer
      - .actual_access:  read_only
        .address_space:  global
        .offset:         24
        .size:           8
        .value_kind:     global_buffer
      - .offset:         32
        .size:           8
        .value_kind:     by_value
      - .actual_access:  read_only
        .address_space:  global
        .offset:         40
        .size:           8
        .value_kind:     global_buffer
      - .actual_access:  read_only
        .address_space:  global
        .offset:         48
        .size:           8
        .value_kind:     global_buffer
      - .offset:         56
        .size:           4
        .value_kind:     by_value
      - .actual_access:  read_only
        .address_space:  global
        .offset:         64
        .size:           8
        .value_kind:     global_buffer
      - .actual_access:  read_only
        .address_space:  global
        .offset:         72
        .size:           8
        .value_kind:     global_buffer
      - .address_space:  global
        .offset:         80
        .size:           8
        .value_kind:     global_buffer
    .group_segment_fixed_size: 0
    .kernarg_segment_align: 8
    .kernarg_segment_size: 88
    .language:       OpenCL C
    .language_version:
      - 2
      - 0
    .max_flat_workgroup_size: 255
    .name:           fft_rtc_back_len1360_factors_17_5_16_wgs_255_tpt_85_halfLds_half_ip_CI_unitstride_sbrr_C2R_dirReg
    .private_segment_fixed_size: 0
    .sgpr_count:     35
    .sgpr_spill_count: 0
    .symbol:         fft_rtc_back_len1360_factors_17_5_16_wgs_255_tpt_85_halfLds_half_ip_CI_unitstride_sbrr_C2R_dirReg.kd
    .uniform_work_group_size: 1
    .uses_dynamic_stack: false
    .vgpr_count:     179
    .vgpr_spill_count: 0
    .wavefront_size: 64
amdhsa.target:   amdgcn-amd-amdhsa--gfx906
amdhsa.version:
  - 1
  - 2
...

	.end_amdgpu_metadata
